;; amdgpu-corpus repo=ROCm/rocFFT kind=compiled arch=gfx950 opt=O3
	.text
	.amdgcn_target "amdgcn-amd-amdhsa--gfx950"
	.amdhsa_code_object_version 6
	.protected	fft_rtc_fwd_len1701_factors_3_3_3_3_3_7_wgs_63_tpt_63_halfLds_dp_ip_CI_sbrr_dirReg ; -- Begin function fft_rtc_fwd_len1701_factors_3_3_3_3_3_7_wgs_63_tpt_63_halfLds_dp_ip_CI_sbrr_dirReg
	.globl	fft_rtc_fwd_len1701_factors_3_3_3_3_3_7_wgs_63_tpt_63_halfLds_dp_ip_CI_sbrr_dirReg
	.p2align	8
	.type	fft_rtc_fwd_len1701_factors_3_3_3_3_3_7_wgs_63_tpt_63_halfLds_dp_ip_CI_sbrr_dirReg,@function
fft_rtc_fwd_len1701_factors_3_3_3_3_3_7_wgs_63_tpt_63_halfLds_dp_ip_CI_sbrr_dirReg: ; @fft_rtc_fwd_len1701_factors_3_3_3_3_3_7_wgs_63_tpt_63_halfLds_dp_ip_CI_sbrr_dirReg
; %bb.0:
	s_load_dwordx2 s[12:13], s[0:1], 0x18
	s_load_dwordx4 s[4:7], s[0:1], 0x0
	s_load_dwordx2 s[10:11], s[0:1], 0x50
	v_mul_u32_u24_e32 v1, 0x411, v0
	v_add_u32_sdwa v6, s2, v1 dst_sel:DWORD dst_unused:UNUSED_PAD src0_sel:DWORD src1_sel:WORD_1
	s_waitcnt lgkmcnt(0)
	s_load_dwordx2 s[8:9], s[12:13], 0x0
	v_mov_b32_e32 v4, 0
	v_cmp_lt_u64_e64 s[2:3], s[6:7], 2
	v_mov_b32_e32 v7, v4
	s_and_b64 vcc, exec, s[2:3]
	v_mov_b64_e32 v[2:3], 0
	s_cbranch_vccnz .LBB0_8
; %bb.1:
	s_load_dwordx2 s[2:3], s[0:1], 0x10
	s_add_u32 s14, s12, 8
	s_addc_u32 s15, s13, 0
	s_mov_b64 s[16:17], 1
	v_mov_b64_e32 v[2:3], 0
	s_waitcnt lgkmcnt(0)
	s_add_u32 s18, s2, 8
	s_addc_u32 s19, s3, 0
.LBB0_2:                                ; =>This Inner Loop Header: Depth=1
	s_load_dwordx2 s[20:21], s[18:19], 0x0
                                        ; implicit-def: $vgpr8_vgpr9
	s_waitcnt lgkmcnt(0)
	v_or_b32_e32 v5, s21, v7
	v_cmp_ne_u64_e32 vcc, 0, v[4:5]
	s_and_saveexec_b64 s[2:3], vcc
	s_xor_b64 s[22:23], exec, s[2:3]
	s_cbranch_execz .LBB0_4
; %bb.3:                                ;   in Loop: Header=BB0_2 Depth=1
	v_cvt_f32_u32_e32 v1, s20
	v_cvt_f32_u32_e32 v5, s21
	s_sub_u32 s2, 0, s20
	s_subb_u32 s3, 0, s21
	v_fmac_f32_e32 v1, 0x4f800000, v5
	v_rcp_f32_e32 v1, v1
	s_nop 0
	v_mul_f32_e32 v1, 0x5f7ffffc, v1
	v_mul_f32_e32 v5, 0x2f800000, v1
	v_trunc_f32_e32 v5, v5
	v_fmac_f32_e32 v1, 0xcf800000, v5
	v_cvt_u32_f32_e32 v5, v5
	v_cvt_u32_f32_e32 v1, v1
	v_mul_lo_u32 v8, s2, v5
	v_mul_hi_u32 v10, s2, v1
	v_mul_lo_u32 v9, s3, v1
	v_add_u32_e32 v10, v10, v8
	v_mul_lo_u32 v12, s2, v1
	v_add_u32_e32 v13, v10, v9
	v_mul_hi_u32 v8, v1, v12
	v_mul_hi_u32 v11, v1, v13
	v_mul_lo_u32 v10, v1, v13
	v_mov_b32_e32 v9, v4
	v_lshl_add_u64 v[8:9], v[8:9], 0, v[10:11]
	v_mul_hi_u32 v11, v5, v12
	v_mul_lo_u32 v12, v5, v12
	v_add_co_u32_e32 v8, vcc, v8, v12
	v_mul_hi_u32 v10, v5, v13
	s_nop 0
	v_addc_co_u32_e32 v8, vcc, v9, v11, vcc
	v_mov_b32_e32 v9, v4
	s_nop 0
	v_addc_co_u32_e32 v11, vcc, 0, v10, vcc
	v_mul_lo_u32 v10, v5, v13
	v_lshl_add_u64 v[8:9], v[8:9], 0, v[10:11]
	v_add_co_u32_e32 v1, vcc, v1, v8
	v_mul_lo_u32 v10, s2, v1
	s_nop 0
	v_addc_co_u32_e32 v5, vcc, v5, v9, vcc
	v_mul_lo_u32 v8, s2, v5
	v_mul_hi_u32 v9, s2, v1
	v_add_u32_e32 v8, v9, v8
	v_mul_lo_u32 v9, s3, v1
	v_add_u32_e32 v12, v8, v9
	v_mul_hi_u32 v14, v5, v10
	v_mul_lo_u32 v15, v5, v10
	v_mul_hi_u32 v9, v1, v12
	v_mul_lo_u32 v8, v1, v12
	v_mul_hi_u32 v10, v1, v10
	v_mov_b32_e32 v11, v4
	v_lshl_add_u64 v[8:9], v[10:11], 0, v[8:9]
	v_add_co_u32_e32 v8, vcc, v8, v15
	v_mul_hi_u32 v13, v5, v12
	s_nop 0
	v_addc_co_u32_e32 v8, vcc, v9, v14, vcc
	v_mul_lo_u32 v10, v5, v12
	s_nop 0
	v_addc_co_u32_e32 v11, vcc, 0, v13, vcc
	v_mov_b32_e32 v9, v4
	v_lshl_add_u64 v[8:9], v[8:9], 0, v[10:11]
	v_add_co_u32_e32 v1, vcc, v1, v8
	v_mul_hi_u32 v10, v6, v1
	s_nop 0
	v_addc_co_u32_e32 v5, vcc, v5, v9, vcc
	v_mad_u64_u32 v[8:9], s[2:3], v6, v5, 0
	v_mov_b32_e32 v11, v4
	v_lshl_add_u64 v[8:9], v[10:11], 0, v[8:9]
	v_mad_u64_u32 v[12:13], s[2:3], v7, v1, 0
	v_add_co_u32_e32 v1, vcc, v8, v12
	v_mad_u64_u32 v[10:11], s[2:3], v7, v5, 0
	s_nop 0
	v_addc_co_u32_e32 v8, vcc, v9, v13, vcc
	v_mov_b32_e32 v9, v4
	s_nop 0
	v_addc_co_u32_e32 v11, vcc, 0, v11, vcc
	v_lshl_add_u64 v[8:9], v[8:9], 0, v[10:11]
	v_mul_lo_u32 v1, s21, v8
	v_mul_lo_u32 v5, s20, v9
	v_mad_u64_u32 v[10:11], s[2:3], s20, v8, 0
	v_add3_u32 v1, v11, v5, v1
	v_sub_u32_e32 v5, v7, v1
	v_mov_b32_e32 v11, s21
	v_sub_co_u32_e32 v14, vcc, v6, v10
	v_lshl_add_u64 v[12:13], v[8:9], 0, 1
	s_nop 0
	v_subb_co_u32_e64 v5, s[2:3], v5, v11, vcc
	v_subrev_co_u32_e64 v10, s[2:3], s20, v14
	v_subb_co_u32_e32 v1, vcc, v7, v1, vcc
	s_nop 0
	v_subbrev_co_u32_e64 v5, s[2:3], 0, v5, s[2:3]
	v_cmp_le_u32_e64 s[2:3], s21, v5
	v_cmp_le_u32_e32 vcc, s21, v1
	s_nop 0
	v_cndmask_b32_e64 v11, 0, -1, s[2:3]
	v_cmp_le_u32_e64 s[2:3], s20, v10
	s_nop 1
	v_cndmask_b32_e64 v10, 0, -1, s[2:3]
	v_cmp_eq_u32_e64 s[2:3], s21, v5
	s_nop 1
	v_cndmask_b32_e64 v5, v11, v10, s[2:3]
	v_lshl_add_u64 v[10:11], v[8:9], 0, 2
	v_cmp_ne_u32_e64 s[2:3], 0, v5
	s_nop 1
	v_cndmask_b32_e64 v5, v13, v11, s[2:3]
	v_cndmask_b32_e64 v11, 0, -1, vcc
	v_cmp_le_u32_e32 vcc, s20, v14
	s_nop 1
	v_cndmask_b32_e64 v13, 0, -1, vcc
	v_cmp_eq_u32_e32 vcc, s21, v1
	s_nop 1
	v_cndmask_b32_e32 v1, v11, v13, vcc
	v_cmp_ne_u32_e32 vcc, 0, v1
	v_cndmask_b32_e64 v1, v12, v10, s[2:3]
	s_nop 0
	v_cndmask_b32_e32 v9, v9, v5, vcc
	v_cndmask_b32_e32 v8, v8, v1, vcc
.LBB0_4:                                ;   in Loop: Header=BB0_2 Depth=1
	s_andn2_saveexec_b64 s[2:3], s[22:23]
	s_cbranch_execz .LBB0_6
; %bb.5:                                ;   in Loop: Header=BB0_2 Depth=1
	v_cvt_f32_u32_e32 v1, s20
	s_sub_i32 s22, 0, s20
	v_rcp_iflag_f32_e32 v1, v1
	s_nop 0
	v_mul_f32_e32 v1, 0x4f7ffffe, v1
	v_cvt_u32_f32_e32 v1, v1
	v_mul_lo_u32 v5, s22, v1
	v_mul_hi_u32 v5, v1, v5
	v_add_u32_e32 v1, v1, v5
	v_mul_hi_u32 v1, v6, v1
	v_mul_lo_u32 v5, v1, s20
	v_sub_u32_e32 v5, v6, v5
	v_add_u32_e32 v8, 1, v1
	v_subrev_u32_e32 v9, s20, v5
	v_cmp_le_u32_e32 vcc, s20, v5
	s_nop 1
	v_cndmask_b32_e32 v5, v5, v9, vcc
	v_cndmask_b32_e32 v1, v1, v8, vcc
	v_add_u32_e32 v8, 1, v1
	v_cmp_le_u32_e32 vcc, s20, v5
	v_mov_b32_e32 v9, v4
	s_nop 0
	v_cndmask_b32_e32 v8, v1, v8, vcc
.LBB0_6:                                ;   in Loop: Header=BB0_2 Depth=1
	s_or_b64 exec, exec, s[2:3]
	v_mad_u64_u32 v[10:11], s[2:3], v8, s20, 0
	s_load_dwordx2 s[2:3], s[14:15], 0x0
	v_mul_lo_u32 v1, v9, s20
	v_mul_lo_u32 v5, v8, s21
	v_add3_u32 v1, v11, v5, v1
	v_sub_co_u32_e32 v5, vcc, v6, v10
	s_add_u32 s16, s16, 1
	s_nop 0
	v_subb_co_u32_e32 v1, vcc, v7, v1, vcc
	s_addc_u32 s17, s17, 0
	s_waitcnt lgkmcnt(0)
	v_mul_lo_u32 v1, s2, v1
	v_mul_lo_u32 v6, s3, v5
	v_mad_u64_u32 v[2:3], s[2:3], s2, v5, v[2:3]
	s_add_u32 s14, s14, 8
	v_add3_u32 v3, v6, v3, v1
	s_addc_u32 s15, s15, 0
	v_mov_b64_e32 v[6:7], s[6:7]
	s_add_u32 s18, s18, 8
	v_cmp_ge_u64_e32 vcc, s[16:17], v[6:7]
	s_addc_u32 s19, s19, 0
	s_cbranch_vccnz .LBB0_9
; %bb.7:                                ;   in Loop: Header=BB0_2 Depth=1
	v_mov_b64_e32 v[6:7], v[8:9]
	s_branch .LBB0_2
.LBB0_8:
	v_mov_b64_e32 v[8:9], v[6:7]
.LBB0_9:
	s_lshl_b64 s[2:3], s[6:7], 3
	s_add_u32 s2, s12, s2
	s_addc_u32 s3, s13, s3
	s_load_dwordx2 s[6:7], s[2:3], 0x0
	s_load_dwordx2 s[12:13], s[0:1], 0x20
	s_mov_b32 s2, 0x4104105
                                        ; implicit-def: $vgpr140_vgpr141
                                        ; implicit-def: $vgpr138_vgpr139
                                        ; implicit-def: $vgpr166
                                        ; implicit-def: $vgpr165
                                        ; implicit-def: $vgpr163
                                        ; implicit-def: $vgpr167
	s_waitcnt lgkmcnt(0)
	v_mul_lo_u32 v1, s6, v9
	v_mul_lo_u32 v4, s7, v8
	v_mad_u64_u32 v[2:3], s[0:1], s6, v8, v[2:3]
	v_add3_u32 v3, v4, v3, v1
	v_mul_hi_u32 v1, v0, s2
	v_mul_u32_u24_e32 v1, 63, v1
	v_sub_u32_e32 v162, v0, v1
	v_cmp_gt_u64_e32 vcc, s[12:13], v[8:9]
	v_cmp_le_u64_e64 s[0:1], s[12:13], v[8:9]
	v_add_u32_e32 v164, 63, v162
	s_and_saveexec_b64 s[2:3], s[0:1]
	s_xor_b64 s[0:1], exec, s[2:3]
; %bb.10:
	v_add_u32_e32 v166, 63, v162
	v_add_u32_e32 v165, 0x7e, v162
	v_add_u32_e32 v163, 0xbd, v162
	v_add_u32_e32 v139, 0x13b, v162
	v_add_u32_e32 v138, 0xfc, v162
	v_add_u32_e32 v141, 0x1b9, v162
	v_add_u32_e32 v140, 0x17a, v162
	v_add_u32_e32 v167, 0x1f8, v162
; %bb.11:
	s_or_saveexec_b64 s[0:1], s[0:1]
	v_lshl_add_u64 v[136:137], v[2:3], 4, s[10:11]
                                        ; implicit-def: $vgpr58_vgpr59
                                        ; implicit-def: $vgpr74_vgpr75
                                        ; implicit-def: $vgpr6_vgpr7
                                        ; implicit-def: $vgpr90_vgpr91
                                        ; implicit-def: $vgpr46_vgpr47
                                        ; implicit-def: $vgpr2_vgpr3
                                        ; implicit-def: $vgpr54_vgpr55
                                        ; implicit-def: $vgpr70_vgpr71
                                        ; implicit-def: $vgpr14_vgpr15
                                        ; implicit-def: $vgpr86_vgpr87
                                        ; implicit-def: $vgpr98_vgpr99
                                        ; implicit-def: $vgpr18_vgpr19
                                        ; implicit-def: $vgpr34_vgpr35
                                        ; implicit-def: $vgpr38_vgpr39
                                        ; implicit-def: $vgpr10_vgpr11
                                        ; implicit-def: $vgpr42_vgpr43
                                        ; implicit-def: $vgpr50_vgpr51
                                        ; implicit-def: $vgpr22_vgpr23
                                        ; implicit-def: $vgpr66_vgpr67
                                        ; implicit-def: $vgpr82_vgpr83
                                        ; implicit-def: $vgpr26_vgpr27
                                        ; implicit-def: $vgpr94_vgpr95
                                        ; implicit-def: $vgpr102_vgpr103
                                        ; implicit-def: $vgpr30_vgpr31
                                        ; implicit-def: $vgpr62_vgpr63
                                        ; implicit-def: $vgpr78_vgpr79
                                        ; implicit-def: $vgpr106_vgpr107
	s_xor_b64 exec, exec, s[0:1]
	s_cbranch_execz .LBB0_13
; %bb.12:
	v_mad_u64_u32 v[0:1], s[2:3], s8, v162, 0
	v_mov_b32_e32 v2, v1
	v_mad_u64_u32 v[2:3], s[2:3], s9, v162, v[2:3]
	v_add_u32_e32 v5, 0x237, v162
	v_mov_b32_e32 v1, v2
	v_mad_u64_u32 v[2:3], s[2:3], s8, v5, 0
	v_mov_b32_e32 v4, v3
	v_mad_u64_u32 v[4:5], s[2:3], s9, v5, v[4:5]
	v_add_u32_e32 v7, 0x46e, v162
	v_mov_b32_e32 v3, v4
	v_mad_u64_u32 v[4:5], s[2:3], s8, v7, 0
	v_mov_b32_e32 v6, v5
	v_mad_u64_u32 v[6:7], s[2:3], s9, v7, v[6:7]
	;; [unrolled: 2-line block ×4, first 2 shown]
	v_add_u32_e32 v11, 0x276, v162
	v_mov_b32_e32 v7, v8
	v_mad_u64_u32 v[8:9], s[2:3], s8, v11, 0
	v_mov_b32_e32 v10, v9
	v_mad_u64_u32 v[10:11], s[2:3], s9, v11, v[10:11]
	v_mov_b32_e32 v9, v10
	v_add_u32_e32 v11, 0x4ad, v162
	v_lshl_add_u64 v[12:13], v[8:9], 4, v[136:137]
	v_mad_u64_u32 v[8:9], s[2:3], s8, v11, 0
	v_mov_b32_e32 v10, v9
	v_mad_u64_u32 v[10:11], s[2:3], s9, v11, v[10:11]
	v_mov_b32_e32 v9, v10
	v_add_u32_e32 v165, 0x7e, v162
	v_lshl_add_u64 v[14:15], v[8:9], 4, v[136:137]
	;; [unrolled: 6-line block ×10, first 2 shown]
	v_mad_u64_u32 v[8:9], s[2:3], s8, v11, 0
	v_mov_b32_e32 v10, v9
	v_mad_u64_u32 v[10:11], s[2:3], s9, v11, v[10:11]
	v_add_u32_e32 v139, 0x13b, v162
	v_mov_b32_e32 v9, v10
	v_lshl_add_u64 v[68:69], v[8:9], 4, v[136:137]
	v_mad_u64_u32 v[8:9], s[2:3], s8, v139, 0
	v_mov_b32_e32 v10, v9
	v_mad_u64_u32 v[10:11], s[2:3], s9, v139, v[10:11]
	v_mov_b32_e32 v9, v10
	v_add_u32_e32 v11, 0x372, v162
	v_lshl_add_u64 v[72:73], v[8:9], 4, v[136:137]
	v_mad_u64_u32 v[8:9], s[2:3], s8, v11, 0
	v_mov_b32_e32 v10, v9
	v_mad_u64_u32 v[10:11], s[2:3], s9, v11, v[10:11]
	v_mov_b32_e32 v9, v10
	v_add_u32_e32 v11, 0x5a9, v162
	v_lshl_add_u64 v[74:75], v[8:9], 4, v[136:137]
	v_mad_u64_u32 v[8:9], s[2:3], s8, v11, 0
	v_mov_b32_e32 v10, v9
	v_mad_u64_u32 v[10:11], s[2:3], s9, v11, v[10:11]
	v_mov_b32_e32 v9, v10
	v_add_u32_e32 v140, 0x17a, v162
	v_lshl_add_u64 v[88:89], v[8:9], 4, v[136:137]
	v_mad_u64_u32 v[8:9], s[2:3], s8, v140, 0
	v_mov_b32_e32 v10, v9
	v_mad_u64_u32 v[10:11], s[2:3], s9, v140, v[10:11]
	v_mov_b32_e32 v9, v10
	v_add_u32_e32 v11, 0x3b1, v162
	v_lshl_add_u64 v[90:91], v[8:9], 4, v[136:137]
	v_mad_u64_u32 v[8:9], s[2:3], s8, v11, 0
	v_mov_b32_e32 v10, v9
	v_mad_u64_u32 v[10:11], s[2:3], s9, v11, v[10:11]
	v_mov_b32_e32 v9, v10
	v_add_u32_e32 v11, 0x5e8, v162
	v_lshl_add_u64 v[108:109], v[8:9], 4, v[136:137]
	v_mad_u64_u32 v[8:9], s[2:3], s8, v11, 0
	v_mov_b32_e32 v10, v9
	v_mad_u64_u32 v[10:11], s[2:3], s9, v11, v[10:11]
	v_add_u32_e32 v141, 0x1b9, v162
	v_mov_b32_e32 v9, v10
	v_lshl_add_u64 v[110:111], v[8:9], 4, v[136:137]
	v_mad_u64_u32 v[8:9], s[2:3], s8, v141, 0
	v_mov_b32_e32 v10, v9
	v_mad_u64_u32 v[10:11], s[2:3], s9, v141, v[10:11]
	v_mov_b32_e32 v9, v10
	v_add_u32_e32 v11, 0x3f0, v162
	v_lshl_add_u64 v[112:113], v[8:9], 4, v[136:137]
	v_mad_u64_u32 v[8:9], s[2:3], s8, v11, 0
	v_mov_b32_e32 v10, v9
	v_mad_u64_u32 v[10:11], s[2:3], s9, v11, v[10:11]
	v_mov_b32_e32 v9, v10
	v_add_u32_e32 v11, 0x627, v162
	;; [unrolled: 6-line block ×5, first 2 shown]
	v_lshl_add_u64 v[120:121], v[8:9], 4, v[136:137]
	v_mad_u64_u32 v[8:9], s[2:3], s8, v11, 0
	v_mov_b32_e32 v10, v9
	v_mad_u64_u32 v[10:11], s[2:3], s9, v11, v[10:11]
	v_lshl_add_u64 v[0:1], v[0:1], 4, v[136:137]
	v_lshl_add_u64 v[2:3], v[2:3], 4, v[136:137]
	;; [unrolled: 1-line block ×4, first 2 shown]
	v_mov_b32_e32 v9, v10
	v_lshl_add_u64 v[122:123], v[8:9], 4, v[136:137]
	global_load_dwordx4 v[104:107], v[0:1], off
	global_load_dwordx4 v[76:79], v[2:3], off
	global_load_dwordx4 v[60:63], v[4:5], off
	global_load_dwordx4 v[28:31], v[6:7], off
	global_load_dwordx4 v[100:103], v[12:13], off
	global_load_dwordx4 v[92:95], v[14:15], off
	global_load_dwordx4 v[24:27], v[16:17], off
	global_load_dwordx4 v[80:83], v[18:19], off
	global_load_dwordx4 v[64:67], v[44:45], off
	global_load_dwordx4 v[20:23], v[46:47], off
	global_load_dwordx4 v[48:51], v[52:53], off
	global_load_dwordx4 v[40:43], v[54:55], off
	global_load_dwordx4 v[8:11], v[56:57], off
	global_load_dwordx4 v[36:39], v[58:59], off
	global_load_dwordx4 v[32:35], v[68:69], off
                                        ; kill: killed $vgpr46_vgpr47
                                        ; kill: killed $vgpr18_vgpr19
                                        ; kill: killed $vgpr14_vgpr15
                                        ; kill: killed $vgpr58_vgpr59
                                        ; kill: killed $vgpr16_vgpr17
                                        ; kill: killed $vgpr12_vgpr13
                                        ; kill: killed $vgpr4_vgpr5
                                        ; kill: killed $vgpr54_vgpr55
                                        ; kill: killed $vgpr56_vgpr57
                                        ; kill: killed $vgpr6_vgpr7
                                        ; kill: killed $vgpr2_vgpr3
                                        ; kill: killed $vgpr52_vgpr53
                                        ; kill: killed $vgpr44_vgpr45
                                        ; kill: killed $vgpr68_vgpr69
                                        ; kill: killed $vgpr0_vgpr1
	global_load_dwordx4 v[16:19], v[72:73], off
	global_load_dwordx4 v[96:99], v[74:75], off
	;; [unrolled: 1-line block ×4, first 2 shown]
	s_nop 0
	global_load_dwordx4 v[68:71], v[108:109], off
	global_load_dwordx4 v[52:55], v[110:111], off
	;; [unrolled: 1-line block ×4, first 2 shown]
                                        ; kill: killed $vgpr108_vgpr109
                                        ; kill: killed $vgpr88_vgpr89
                                        ; kill: killed $vgpr114_vgpr115
                                        ; kill: killed $vgpr90_vgpr91
                                        ; kill: killed $vgpr74_vgpr75
                                        ; kill: killed $vgpr112_vgpr113
                                        ; kill: killed $vgpr110_vgpr111
                                        ; kill: killed $vgpr72_vgpr73
	global_load_dwordx4 v[88:91], v[116:117], off
	global_load_dwordx4 v[4:7], v[118:119], off
	;; [unrolled: 1-line block ×4, first 2 shown]
	v_mov_b32_e32 v166, v164
.LBB0_13:
	s_or_b64 exec, exec, s[0:1]
	s_waitcnt vmcnt(24)
	v_add_f64 v[110:111], v[60:61], v[76:77]
	s_mov_b32 s2, 0xe8584caa
	v_add_f64 v[108:109], v[76:77], v[104:105]
	v_fmac_f64_e32 v[104:105], -0.5, v[110:111]
	v_add_f64 v[110:111], v[78:79], -v[62:63]
	s_mov_b32 s3, 0x3febb67a
	s_mov_b32 s7, 0xbfebb67a
	;; [unrolled: 1-line block ×3, first 2 shown]
	v_fma_f64 v[112:113], s[2:3], v[110:111], v[104:105]
	v_fmac_f64_e32 v[104:105], s[6:7], v[110:111]
	v_add_f64 v[110:111], v[78:79], v[106:107]
	v_add_f64 v[158:159], v[76:77], -v[60:61]
	s_waitcnt vmcnt(21)
	v_add_f64 v[76:77], v[92:93], v[100:101]
	v_add_f64 v[78:79], v[62:63], v[78:79]
	;; [unrolled: 1-line block ×4, first 2 shown]
	v_fmac_f64_e32 v[28:29], -0.5, v[76:77]
	v_add_f64 v[76:77], v[102:103], -v[94:95]
	v_add_f64 v[60:61], v[60:61], v[108:109]
	v_fma_f64 v[108:109], s[2:3], v[76:77], v[28:29]
	v_fmac_f64_e32 v[28:29], s[6:7], v[76:77]
	v_add_f64 v[62:63], v[92:93], v[62:63]
	v_mad_u32_u24 v188, v162, 24, 0
	s_waitcnt vmcnt(18)
	v_add_f64 v[76:77], v[64:65], v[80:81]
	v_mad_i32_i24 v168, v166, 24, 0
	ds_write2_b64 v188, v[60:61], v[112:113] offset1:1
	v_add_f64 v[60:61], v[80:81], v[24:25]
	v_fmac_f64_e32 v[24:25], -0.5, v[76:77]
	ds_write_b64 v188, v[104:105] offset:16
	ds_write2_b64 v168, v[62:63], v[108:109] offset1:1
	v_add_f64 v[62:63], v[82:83], -v[66:67]
	s_waitcnt vmcnt(15)
	v_add_f64 v[104:105], v[40:41], v[48:49]
	v_fma_f64 v[76:77], s[2:3], v[62:63], v[24:25]
	v_fmac_f64_e32 v[24:25], s[6:7], v[62:63]
	v_add_f64 v[62:63], v[48:49], v[20:21]
	v_fmac_f64_e32 v[20:21], -0.5, v[104:105]
	v_add_f64 v[60:61], v[64:65], v[60:61]
	ds_write_b64 v168, v[28:29] offset:16
	v_mad_i32_i24 v169, v165, 24, 0
	v_add_f64 v[28:29], v[50:51], -v[42:43]
	ds_write2_b64 v169, v[60:61], v[76:77] offset1:1
	v_fma_f64 v[60:61], s[2:3], v[28:29], v[20:21]
	v_fmac_f64_e32 v[20:21], s[6:7], v[28:29]
	s_waitcnt vmcnt(12)
	v_add_f64 v[28:29], v[32:33], v[36:37]
	v_add_f64 v[62:63], v[40:41], v[62:63]
	ds_write_b64 v169, v[24:25] offset:16
	v_mad_i32_i24 v175, v163, 24, 0
	v_add_f64 v[24:25], v[36:37], v[8:9]
	v_fmac_f64_e32 v[8:9], -0.5, v[28:29]
	v_add_f64 v[28:29], v[38:39], -v[34:35]
	ds_write2_b64 v175, v[62:63], v[60:61] offset1:1
	v_fma_f64 v[60:61], s[2:3], v[28:29], v[8:9]
	v_add_f64 v[24:25], v[32:33], v[24:25]
	v_mad_i32_i24 v189, v138, 24, 0
	ds_write_b64 v175, v[20:21] offset:16
	ds_write2_b64 v189, v[24:25], v[60:61] offset1:1
	s_waitcnt vmcnt(9)
	v_add_f64 v[24:25], v[84:85], v[96:97]
	v_fmac_f64_e32 v[8:9], s[6:7], v[28:29]
	v_add_f64 v[20:21], v[96:97], v[16:17]
	v_fmac_f64_e32 v[16:17], -0.5, v[24:25]
	v_add_f64 v[24:25], v[98:99], -v[86:87]
	v_add_f64 v[20:21], v[84:85], v[20:21]
	ds_write_b64 v189, v[8:9] offset:16
	v_mad_i32_i24 v190, v139, 24, 0
	v_fma_f64 v[8:9], s[2:3], v[24:25], v[16:17]
	ds_write2_b64 v190, v[20:21], v[8:9] offset1:1
	v_fmac_f64_e32 v[16:17], s[6:7], v[24:25]
	s_waitcnt vmcnt(6)
	v_add_f64 v[20:21], v[52:53], v[68:69]
	v_add_f64 v[8:9], v[68:69], v[12:13]
	v_fmac_f64_e32 v[12:13], -0.5, v[20:21]
	ds_write_b64 v190, v[16:17] offset:16
	v_add_f64 v[16:17], v[70:71], -v[54:55]
	v_add_f64 v[8:9], v[52:53], v[8:9]
	v_mad_i32_i24 v191, v140, 24, 0
	v_fma_f64 v[20:21], s[2:3], v[16:17], v[12:13]
	v_fmac_f64_e32 v[12:13], s[6:7], v[16:17]
	s_waitcnt vmcnt(3)
	v_add_f64 v[16:17], v[88:89], v[44:45]
	ds_write2_b64 v191, v[8:9], v[20:21] offset1:1
	v_add_f64 v[8:9], v[44:45], v[0:1]
	v_fmac_f64_e32 v[0:1], -0.5, v[16:17]
	ds_write_b64 v191, v[12:13] offset:16
	v_add_f64 v[12:13], v[46:47], -v[90:91]
	v_add_f64 v[8:9], v[88:89], v[8:9]
	v_mad_i32_i24 v192, v141, 24, 0
	v_fma_f64 v[16:17], s[2:3], v[12:13], v[0:1]
	v_fmac_f64_e32 v[0:1], s[6:7], v[12:13]
	s_waitcnt vmcnt(0)
	v_add_f64 v[12:13], v[56:57], v[72:73]
	ds_write2_b64 v192, v[8:9], v[16:17] offset1:1
	v_add_f64 v[8:9], v[72:73], v[4:5]
	v_fmac_f64_e32 v[4:5], -0.5, v[12:13]
	ds_write_b64 v192, v[0:1] offset:16
	v_add_f64 v[0:1], v[74:75], -v[58:59]
	v_fma_f64 v[12:13], s[2:3], v[0:1], v[4:5]
	v_fmac_f64_e32 v[4:5], s[6:7], v[0:1]
	v_lshlrev_b32_e32 v0, 4, v138
	v_sub_u32_e32 v181, v189, v0
	v_lshlrev_b32_e32 v0, 4, v139
	v_sub_u32_e32 v182, v190, v0
	;; [unrolled: 2-line block ×3, first 2 shown]
	v_lshlrev_b32_e32 v0, 4, v141
	v_mad_i32_i24 v193, v167, 24, 0
	v_fmac_f64_e32 v[106:107], -0.5, v[78:79]
	v_sub_u32_e32 v184, v192, v0
	v_lshlrev_b32_e32 v0, 4, v167
	v_add_f64 v[8:9], v[56:57], v[8:9]
	ds_write_b64 v193, v[4:5] offset:16
	v_sub_u32_e32 v185, v193, v0
	v_lshl_add_u32 v170, v162, 3, 0
	v_lshlrev_b32_e32 v176, 4, v166
	v_lshlrev_b32_e32 v177, 4, v165
	;; [unrolled: 1-line block ×3, first 2 shown]
	v_fma_f64 v[0:1], s[6:7], v[158:159], v[106:107]
	v_add_f64 v[4:5], v[94:95], v[102:103]
	ds_write2_b64 v193, v[8:9], v[12:13] offset1:1
	s_waitcnt lgkmcnt(0)
	; wave barrier
	s_waitcnt lgkmcnt(0)
	v_add_u32_e32 v172, 0x1000, v170
	v_add_u32_e32 v171, 0x2000, v170
	v_sub_u32_e32 v178, v168, v176
	v_sub_u32_e32 v179, v169, v177
	;; [unrolled: 1-line block ×3, first 2 shown]
	v_add_u32_e32 v174, 0x2800, v170
	v_add_u32_e32 v173, 0x1800, v170
	;; [unrolled: 1-line block ×3, first 2 shown]
	ds_read_b64 v[156:157], v170
	ds_read_b64 v[154:155], v178
	;; [unrolled: 1-line block ×9, first 2 shown]
	ds_read2_b64 v[132:135], v172 offset0:55 offset1:118
	ds_read2_b64 v[76:79], v171 offset0:47 offset1:110
	;; [unrolled: 1-line block ×9, first 2 shown]
	s_waitcnt lgkmcnt(0)
	; wave barrier
	s_waitcnt lgkmcnt(0)
	ds_write2_b64 v188, v[160:161], v[0:1] offset1:1
	v_add_f64 v[0:1], v[102:103], v[30:31]
	v_add_f64 v[8:9], v[100:101], -v[92:93]
	v_add_f64 v[16:17], v[66:67], v[82:83]
	v_fmac_f64_e32 v[30:31], -0.5, v[4:5]
	v_fmac_f64_e32 v[106:107], s[2:3], v[158:159]
	v_add_f64 v[0:1], v[94:95], v[0:1]
	v_add_f64 v[12:13], v[82:83], v[26:27]
	v_add_f64 v[20:21], v[80:81], -v[64:65]
	v_add_f64 v[24:25], v[50:51], v[22:23]
	v_add_f64 v[28:29], v[42:43], v[50:51]
	v_fma_f64 v[4:5], s[6:7], v[8:9], v[30:31]
	v_fmac_f64_e32 v[26:27], -0.5, v[16:17]
	ds_write_b64 v188, v[106:107] offset:16
	v_add_f64 v[12:13], v[66:67], v[12:13]
	v_add_f64 v[40:41], v[48:49], -v[40:41]
	v_add_f64 v[24:25], v[42:43], v[24:25]
	v_add_f64 v[42:43], v[38:39], v[10:11]
	;; [unrolled: 1-line block ×3, first 2 shown]
	ds_write2_b64 v168, v[0:1], v[4:5] offset1:1
	v_fmac_f64_e32 v[30:31], s[2:3], v[8:9]
	v_fma_f64 v[0:1], s[6:7], v[20:21], v[26:27]
	v_fmac_f64_e32 v[22:23], -0.5, v[28:29]
	v_add_f64 v[32:33], v[36:37], -v[32:33]
	v_add_f64 v[34:35], v[34:35], v[42:43]
	v_add_f64 v[42:43], v[86:87], v[98:99]
	;; [unrolled: 1-line block ×3, first 2 shown]
	ds_write_b64 v168, v[30:31] offset:16
	ds_write2_b64 v169, v[12:13], v[0:1] offset1:1
	v_fmac_f64_e32 v[26:27], s[2:3], v[20:21]
	v_fma_f64 v[0:1], s[6:7], v[40:41], v[22:23]
	v_fmac_f64_e32 v[10:11], -0.5, v[38:39]
	v_add_f64 v[36:37], v[98:99], v[18:19]
	v_add_f64 v[48:49], v[96:97], -v[84:85]
	v_add_f64 v[64:65], v[54:55], v[70:71]
	v_add_f64 v[52:53], v[68:69], -v[52:53]
	v_add_f64 v[50:51], v[54:55], v[50:51]
	v_add_f64 v[54:55], v[46:47], v[2:3]
	;; [unrolled: 1-line block ×4, first 2 shown]
	ds_write_b64 v169, v[26:27] offset:16
	ds_write2_b64 v175, v[24:25], v[0:1] offset1:1
	v_fmac_f64_e32 v[22:23], s[2:3], v[40:41]
	v_fma_f64 v[0:1], s[6:7], v[32:33], v[10:11]
	v_fmac_f64_e32 v[18:19], -0.5, v[42:43]
	v_add_f64 v[44:45], v[44:45], -v[88:89]
	v_add_f64 v[66:67], v[74:75], v[6:7]
	v_add_f64 v[56:57], v[72:73], -v[56:57]
	ds_write_b64 v175, v[22:23] offset:16
	ds_write2_b64 v189, v[34:35], v[0:1] offset1:1
	v_fmac_f64_e32 v[10:11], s[2:3], v[32:33]
	v_fma_f64 v[0:1], s[6:7], v[48:49], v[18:19]
	v_fmac_f64_e32 v[14:15], -0.5, v[64:65]
	v_fmac_f64_e32 v[2:3], -0.5, v[46:47]
	;; [unrolled: 1-line block ×3, first 2 shown]
	s_movk_i32 s0, 0xab
	v_add_f64 v[36:37], v[86:87], v[36:37]
	v_add_f64 v[54:55], v[90:91], v[54:55]
	;; [unrolled: 1-line block ×3, first 2 shown]
	v_fmac_f64_e32 v[18:19], s[2:3], v[48:49]
	v_fma_f64 v[4:5], s[6:7], v[52:53], v[14:15]
	v_fmac_f64_e32 v[14:15], s[2:3], v[52:53]
	v_fma_f64 v[8:9], s[6:7], v[44:45], v[2:3]
	;; [unrolled: 2-line block ×3, first 2 shown]
	v_fmac_f64_e32 v[6:7], s[2:3], v[56:57]
	ds_write_b64 v189, v[10:11] offset:16
	ds_write2_b64 v190, v[36:37], v[0:1] offset1:1
	ds_write_b64 v190, v[18:19] offset:16
	ds_write2_b64 v191, v[50:51], v[4:5] offset1:1
	;; [unrolled: 2-line block ×4, first 2 shown]
	ds_write_b64 v193, v[6:7] offset:16
	v_mul_lo_u16_sdwa v0, v162, s0 dst_sel:DWORD dst_unused:UNUSED_PAD src0_sel:BYTE_0 src1_sel:DWORD
	v_lshrrev_b16_e32 v74, 9, v0
	v_mul_lo_u16_sdwa v4, v166, s0 dst_sel:DWORD dst_unused:UNUSED_PAD src0_sel:BYTE_0 src1_sel:DWORD
	v_mul_lo_u16_e32 v0, 3, v74
	v_lshrrev_b16_e32 v80, 9, v4
	v_sub_u16_e32 v75, v162, v0
	v_mov_b32_e32 v158, 5
	v_mul_lo_u16_e32 v4, 3, v80
	v_lshlrev_b32_sdwa v36, v158, v75 dst_sel:DWORD dst_unused:UNUSED_PAD src0_sel:DWORD src1_sel:BYTE_0
	v_sub_u16_e32 v81, v166, v4
	s_waitcnt lgkmcnt(0)
	; wave barrier
	s_waitcnt lgkmcnt(0)
	global_load_dwordx4 v[0:3], v36, s[4:5]
	v_lshlrev_b32_sdwa v12, v158, v81 dst_sel:DWORD dst_unused:UNUSED_PAD src0_sel:DWORD src1_sel:BYTE_0
	global_load_dwordx4 v[8:11], v12, s[4:5]
	global_load_dwordx4 v[4:7], v12, s[4:5] offset:16
	v_mul_lo_u16_sdwa v12, v165, s0 dst_sel:DWORD dst_unused:UNUSED_PAD src0_sel:BYTE_0 src1_sel:DWORD
	v_lshrrev_b16_e32 v82, 9, v12
	v_mul_lo_u16_e32 v12, 3, v82
	v_sub_u16_e32 v83, v165, v12
	v_lshlrev_b32_sdwa v20, v158, v83 dst_sel:DWORD dst_unused:UNUSED_PAD src0_sel:DWORD src1_sel:BYTE_0
	global_load_dwordx4 v[12:15], v20, s[4:5] offset:16
	global_load_dwordx4 v[16:19], v20, s[4:5]
	v_mul_lo_u16_sdwa v20, v163, s0 dst_sel:DWORD dst_unused:UNUSED_PAD src0_sel:BYTE_0 src1_sel:DWORD
	v_lshrrev_b16_e32 v84, 9, v20
	v_mul_lo_u16_e32 v20, 3, v84
	v_sub_u16_e32 v85, v163, v20
	v_lshlrev_b32_sdwa v28, v158, v85 dst_sel:DWORD dst_unused:UNUSED_PAD src0_sel:DWORD src1_sel:BYTE_0
	s_mov_b32 s0, 0xaaab
	global_load_dwordx4 v[20:23], v28, s[4:5]
	global_load_dwordx4 v[24:27], v28, s[4:5] offset:16
	v_mul_u32_u24_sdwa v28, v138, s0 dst_sel:DWORD dst_unused:UNUSED_PAD src0_sel:WORD_0 src1_sel:DWORD
	v_lshrrev_b32_e32 v87, 17, v28
	v_mul_u32_u24_sdwa v37, v139, s0 dst_sel:DWORD dst_unused:UNUSED_PAD src0_sel:WORD_0 src1_sel:DWORD
	v_mul_lo_u16_e32 v28, 3, v87
	v_lshrrev_b32_e32 v89, 17, v37
	v_sub_u16_e32 v86, v138, v28
	v_mul_lo_u16_e32 v37, 3, v89
	v_lshlrev_b32_e32 v32, 5, v86
	v_sub_u16_e32 v88, v139, v37
	global_load_dwordx4 v[28:31], v32, s[4:5] offset:16
	s_nop 0
	global_load_dwordx4 v[32:35], v32, s[4:5]
	v_lshlrev_b32_e32 v37, 5, v88
	global_load_dwordx4 v[66:69], v37, s[4:5]
	global_load_dwordx4 v[98:101], v37, s[4:5] offset:16
	v_mul_u32_u24_sdwa v37, v140, s0 dst_sel:DWORD dst_unused:UNUSED_PAD src0_sel:WORD_0 src1_sel:DWORD
	v_lshrrev_b32_e32 v216, 17, v37
	v_mul_lo_u16_e32 v37, 3, v216
	v_sub_u16_e32 v159, v140, v37
	v_lshlrev_b32_e32 v37, 5, v159
	global_load_dwordx4 v[188:191], v37, s[4:5] offset:16
	global_load_dwordx4 v[192:195], v37, s[4:5]
	v_mul_u32_u24_sdwa v37, v141, s0 dst_sel:DWORD dst_unused:UNUSED_PAD src0_sel:WORD_0 src1_sel:DWORD
	v_lshrrev_b32_e32 v217, 17, v37
	v_mul_lo_u16_e32 v37, 3, v217
	v_sub_u16_e32 v218, v141, v37
	v_lshlrev_b32_e32 v37, 5, v218
	global_load_dwordx4 v[196:199], v37, s[4:5]
	global_load_dwordx4 v[200:203], v36, s[4:5] offset:16
	v_mul_u32_u24_sdwa v36, v167, s0 dst_sel:DWORD dst_unused:UNUSED_PAD src0_sel:WORD_0 src1_sel:DWORD
	v_lshrrev_b32_e32 v219, 17, v36
	v_mul_lo_u16_e32 v36, 3, v219
	v_sub_u16_e32 v220, v167, v36
	v_lshlrev_b32_e32 v40, 5, v220
	global_load_dwordx4 v[204:207], v40, s[4:5]
	global_load_dwordx4 v[208:211], v37, s[4:5] offset:16
	global_load_dwordx4 v[212:215], v40, s[4:5] offset:16
	ds_read2_b64 v[36:39], v172 offset0:55 offset1:118
	s_mov_b32 s10, 0x5040100
	s_movk_i32 s0, 0x48
	v_sub_u32_e32 v176, 0, v176
	s_waitcnt vmcnt(17) lgkmcnt(0)
	v_mul_f64 v[40:41], v[36:37], v[2:3]
	v_fma_f64 v[72:73], v[132:133], v[0:1], -v[40:41]
	ds_read2_b64 v[40:43], v171 offset0:173 offset1:236
	v_mul_f64 v[2:3], v[132:133], v[2:3]
	v_fmac_f64_e32 v[2:3], v[36:37], v[0:1]
	s_waitcnt vmcnt(16)
	v_mul_f64 v[0:1], v[38:39], v[10:11]
	v_fma_f64 v[36:37], v[134:135], v[8:9], -v[0:1]
	s_waitcnt vmcnt(15) lgkmcnt(0)
	v_mul_f64 v[0:1], v[40:41], v[6:7]
	v_mul_f64 v[70:71], v[128:129], v[6:7]
	v_fma_f64 v[52:53], v[128:129], v[4:5], -v[0:1]
	v_fmac_f64_e32 v[70:71], v[40:41], v[4:5]
	ds_read2_b64 v[4:7], v172 offset0:181 offset1:244
	v_mul_f64 v[44:45], v[134:135], v[10:11]
	v_fmac_f64_e32 v[44:45], v[38:39], v[8:9]
	ds_read2_b64 v[8:11], v174 offset0:43 offset1:106
	s_waitcnt vmcnt(14)
	v_mul_f64 v[0:1], v[42:43], v[14:15]
	v_fma_f64 v[38:39], v[130:131], v[12:13], -v[0:1]
	s_waitcnt vmcnt(13) lgkmcnt(1)
	v_mul_f64 v[0:1], v[4:5], v[18:19]
	v_mul_f64 v[90:91], v[124:125], v[18:19]
	s_waitcnt vmcnt(12)
	v_mul_f64 v[48:49], v[126:127], v[22:23]
	v_fma_f64 v[54:55], v[124:125], v[16:17], -v[0:1]
	v_fmac_f64_e32 v[90:91], v[4:5], v[16:17]
	v_mul_f64 v[0:1], v[6:7], v[22:23]
	v_fmac_f64_e32 v[48:49], v[6:7], v[20:21]
	ds_read2_b64 v[4:7], v173 offset0:51 offset1:114
	v_fma_f64 v[40:41], v[126:127], v[20:21], -v[0:1]
	s_waitcnt vmcnt(11) lgkmcnt(1)
	v_mul_f64 v[0:1], v[8:9], v[26:27]
	v_mul_f64 v[92:93], v[120:121], v[26:27]
	s_waitcnt vmcnt(10)
	v_mul_f64 v[58:59], v[122:123], v[30:31]
	v_fma_f64 v[56:57], v[120:121], v[24:25], -v[0:1]
	v_fmac_f64_e32 v[92:93], v[8:9], v[24:25]
	v_mul_f64 v[0:1], v[10:11], v[30:31]
	v_fmac_f64_e32 v[58:59], v[10:11], v[28:29]
	ds_read2_b64 v[8:11], v174 offset0:169 offset1:232
	v_mul_f64 v[46:47], v[130:131], v[14:15]
	v_fmac_f64_e32 v[46:47], v[42:43], v[12:13]
	v_fma_f64 v[42:43], v[122:123], v[28:29], -v[0:1]
	s_waitcnt vmcnt(9) lgkmcnt(1)
	v_mul_f64 v[0:1], v[4:5], v[34:35]
	v_fma_f64 v[64:65], v[116:117], v[32:33], -v[0:1]
	v_mul_f64 v[96:97], v[116:117], v[34:35]
	s_waitcnt vmcnt(8)
	v_mul_f64 v[0:1], v[6:7], v[68:69]
	v_mul_f64 v[68:69], v[118:119], v[68:69]
	v_fmac_f64_e32 v[96:97], v[4:5], v[32:33]
	v_fmac_f64_e32 v[68:69], v[6:7], v[66:67]
	ds_read2_b64 v[4:7], v173 offset0:177 offset1:240
	v_fma_f64 v[50:51], v[118:119], v[66:67], -v[0:1]
	s_waitcnt vmcnt(7) lgkmcnt(1)
	v_mul_f64 v[0:1], v[8:9], v[100:101]
	v_mul_f64 v[102:103], v[112:113], v[100:101]
	v_fma_f64 v[94:95], v[112:113], v[98:99], -v[0:1]
	v_fmac_f64_e32 v[102:103], v[8:9], v[98:99]
	s_waitcnt vmcnt(6)
	v_mul_f64 v[98:99], v[114:115], v[190:191]
	v_mul_f64 v[0:1], v[10:11], v[190:191]
	v_fmac_f64_e32 v[98:99], v[10:11], v[188:189]
	ds_read2_b64 v[8:11], v171 offset0:47 offset1:110
	v_fma_f64 v[66:67], v[114:115], v[188:189], -v[0:1]
	s_waitcnt vmcnt(5) lgkmcnt(1)
	v_mul_f64 v[0:1], v[4:5], v[194:195]
	v_fma_f64 v[100:101], v[108:109], v[192:193], -v[0:1]
	v_mul_f64 v[108:109], v[108:109], v[194:195]
	v_fmac_f64_e32 v[108:109], v[4:5], v[192:193]
	s_waitcnt vmcnt(4)
	v_mul_f64 v[0:1], v[6:7], v[198:199]
	s_waitcnt vmcnt(3)
	v_mul_f64 v[4:5], v[78:79], v[202:203]
	v_fma_f64 v[106:107], v[110:111], v[196:197], -v[0:1]
	s_waitcnt lgkmcnt(0)
	v_mul_f64 v[0:1], v[10:11], v[202:203]
	v_fmac_f64_e32 v[4:5], v[10:11], v[200:201]
	ds_read2_b64 v[10:13], v187 offset0:39 offset1:102
	v_mul_f64 v[112:113], v[110:111], v[198:199]
	v_fmac_f64_e32 v[112:113], v[6:7], v[196:197]
	s_waitcnt vmcnt(2)
	v_mul_f64 v[6:7], v[8:9], v[206:207]
	v_fma_f64 v[0:1], v[78:79], v[200:201], -v[0:1]
	v_fma_f64 v[110:111], v[76:77], v[204:205], -v[6:7]
	v_mul_f64 v[114:115], v[76:77], v[206:207]
	s_waitcnt vmcnt(1) lgkmcnt(0)
	v_mul_f64 v[6:7], v[10:11], v[210:211]
	v_fmac_f64_e32 v[114:115], v[8:9], v[204:205]
	v_fma_f64 v[116:117], v[60:61], v[208:209], -v[6:7]
	s_waitcnt vmcnt(0)
	v_mul_f64 v[6:7], v[12:13], v[214:215]
	v_add_f64 v[8:9], v[72:73], v[0:1]
	v_mov_b32_e32 v130, 3
	v_mul_f64 v[118:119], v[60:61], v[210:211]
	v_fma_f64 v[60:61], v[62:63], v[212:213], -v[6:7]
	v_add_f64 v[6:7], v[156:157], v[72:73]
	v_fmac_f64_e32 v[156:157], -0.5, v[8:9]
	v_mul_u32_u24_e32 v8, 0x48, v74
	v_lshlrev_b32_sdwa v9, v130, v75 dst_sel:DWORD dst_unused:UNUSED_PAD src0_sel:DWORD src1_sel:BYTE_0
	v_add3_u32 v131, 0, v8, v9
	v_add_f64 v[8:9], v[2:3], -v[4:5]
	v_fmac_f64_e32 v[118:119], v[10:11], v[208:209]
	v_add_f64 v[6:7], v[6:7], v[0:1]
	v_fma_f64 v[10:11], s[2:3], v[8:9], v[156:157]
	v_fmac_f64_e32 v[156:157], s[6:7], v[8:9]
	v_add_f64 v[8:9], v[36:37], v[52:53]
	ds_read_b64 v[120:121], v170
	ds_read_b64 v[122:123], v178
	;; [unrolled: 1-line block ×9, first 2 shown]
	s_waitcnt lgkmcnt(0)
	; wave barrier
	s_waitcnt lgkmcnt(0)
	ds_write2_b64 v131, v[6:7], v[10:11] offset1:3
	v_add_f64 v[6:7], v[154:155], v[36:37]
	v_fmac_f64_e32 v[154:155], -0.5, v[8:9]
	v_mul_u32_u24_e32 v8, 0x48, v80
	v_lshlrev_b32_sdwa v9, v130, v81 dst_sel:DWORD dst_unused:UNUSED_PAD src0_sel:DWORD src1_sel:BYTE_0
	ds_write_b64 v131, v[156:157] offset:48
	v_add3_u32 v156, 0, v8, v9
	v_add_f64 v[8:9], v[44:45], -v[70:71]
	v_add_f64 v[6:7], v[6:7], v[52:53]
	v_fma_f64 v[10:11], s[2:3], v[8:9], v[154:155]
	v_fmac_f64_e32 v[154:155], s[6:7], v[8:9]
	v_add_f64 v[8:9], v[54:55], v[38:39]
	ds_write2_b64 v156, v[6:7], v[10:11] offset1:3
	v_add_f64 v[6:7], v[152:153], v[54:55]
	v_fmac_f64_e32 v[152:153], -0.5, v[8:9]
	v_mul_u32_u24_e32 v8, 0x48, v82
	v_lshlrev_b32_sdwa v9, v130, v83 dst_sel:DWORD dst_unused:UNUSED_PAD src0_sel:DWORD src1_sel:BYTE_0
	ds_write_b64 v156, v[154:155] offset:48
	v_add3_u32 v154, 0, v8, v9
	v_add_f64 v[8:9], v[90:91], -v[46:47]
	v_add_f64 v[6:7], v[6:7], v[38:39]
	v_fma_f64 v[10:11], s[2:3], v[8:9], v[152:153]
	v_fmac_f64_e32 v[152:153], s[6:7], v[8:9]
	v_add_f64 v[8:9], v[40:41], v[56:57]
	;; [unrolled: 12-line block ×3, first 2 shown]
	v_mul_f64 v[62:63], v[62:63], v[214:215]
	ds_write2_b64 v152, v[6:7], v[10:11] offset1:3
	v_add_f64 v[6:7], v[148:149], v[64:65]
	v_fmac_f64_e32 v[148:149], -0.5, v[8:9]
	v_perm_b32 v8, v89, v87, s10
	v_fmac_f64_e32 v[62:63], v[12:13], v[212:213]
	v_pk_mul_lo_u16 v12, v8, s0 op_sel_hi:[1,0]
	v_lshlrev_b32_e32 v8, 3, v86
	v_and_b32_e32 v9, 0xfff8, v12
	ds_write_b64 v152, v[150:151] offset:48
	v_add3_u32 v150, 0, v9, v8
	v_add_f64 v[8:9], v[96:97], -v[58:59]
	v_add_f64 v[6:7], v[6:7], v[42:43]
	v_fma_f64 v[10:11], s[2:3], v[8:9], v[148:149]
	v_fmac_f64_e32 v[148:149], s[6:7], v[8:9]
	v_add_f64 v[8:9], v[50:51], v[94:95]
	ds_write2_b64 v150, v[6:7], v[10:11] offset1:3
	v_add_f64 v[6:7], v[146:147], v[50:51]
	v_fmac_f64_e32 v[146:147], -0.5, v[8:9]
	v_lshrrev_b32_e32 v8, 16, v12
	v_lshlrev_b32_e32 v9, 3, v88
	ds_write_b64 v150, v[148:149] offset:48
	v_add3_u32 v148, 0, v8, v9
	v_add_f64 v[8:9], v[68:69], -v[102:103]
	v_add_f64 v[6:7], v[6:7], v[94:95]
	v_fma_f64 v[10:11], s[2:3], v[8:9], v[146:147]
	v_fmac_f64_e32 v[146:147], s[6:7], v[8:9]
	v_add_f64 v[8:9], v[100:101], v[66:67]
	ds_write2_b64 v148, v[6:7], v[10:11] offset1:3
	v_add_f64 v[6:7], v[144:145], v[100:101]
	v_fmac_f64_e32 v[144:145], -0.5, v[8:9]
	v_perm_b32 v8, v217, v216, s10
	v_pk_mul_lo_u16 v12, v8, s0 op_sel_hi:[1,0]
	v_lshlrev_b32_e32 v8, 3, v159
	v_and_b32_e32 v9, 0xfff8, v12
	ds_write_b64 v148, v[146:147] offset:48
	v_add3_u32 v146, 0, v9, v8
	v_add_f64 v[8:9], v[108:109], -v[98:99]
	v_add_f64 v[6:7], v[6:7], v[66:67]
	v_fma_f64 v[10:11], s[2:3], v[8:9], v[144:145]
	v_fmac_f64_e32 v[144:145], s[6:7], v[8:9]
	v_add_f64 v[8:9], v[106:107], v[116:117]
	ds_write2_b64 v146, v[6:7], v[10:11] offset1:3
	v_add_f64 v[6:7], v[142:143], v[106:107]
	v_fmac_f64_e32 v[142:143], -0.5, v[8:9]
	v_lshrrev_b32_e32 v8, 16, v12
	v_lshlrev_b32_e32 v9, 3, v218
	v_add3_u32 v147, 0, v8, v9
	v_add_f64 v[8:9], v[112:113], -v[118:119]
	v_add_f64 v[6:7], v[6:7], v[116:117]
	v_fma_f64 v[10:11], s[2:3], v[8:9], v[142:143]
	v_fmac_f64_e32 v[142:143], s[6:7], v[8:9]
	v_add_f64 v[8:9], v[110:111], v[60:61]
	ds_write_b64 v146, v[144:145] offset:48
	ds_write2_b64 v147, v[6:7], v[10:11] offset1:3
	v_add_f64 v[6:7], v[104:105], v[110:111]
	v_fmac_f64_e32 v[104:105], -0.5, v[8:9]
	v_mul_u32_u24_e32 v8, 0x48, v219
	v_lshlrev_b32_e32 v9, 3, v220
	v_add3_u32 v149, 0, v8, v9
	v_add_f64 v[8:9], v[114:115], -v[62:63]
	v_add_f64 v[6:7], v[6:7], v[60:61]
	v_fma_f64 v[10:11], s[2:3], v[8:9], v[104:105]
	ds_write_b64 v147, v[142:143] offset:48
	ds_write2_b64 v149, v[6:7], v[10:11] offset1:3
	v_add_f64 v[6:7], v[120:121], v[2:3]
	v_add_f64 v[2:3], v[2:3], v[4:5]
	v_fmac_f64_e32 v[120:121], -0.5, v[2:3]
	v_add_f64 v[144:145], v[72:73], -v[0:1]
	v_fmac_f64_e32 v[104:105], s[6:7], v[8:9]
	v_add_f64 v[142:143], v[6:7], v[4:5]
	ds_write_b64 v149, v[104:105] offset:48
	v_fma_f64 v[104:105], s[6:7], v[144:145], v[120:121]
	s_waitcnt lgkmcnt(0)
	; wave barrier
	s_waitcnt lgkmcnt(0)
	ds_read_b64 v[88:89], v170
	ds_read_b64 v[86:87], v178
	;; [unrolled: 1-line block ×9, first 2 shown]
	ds_read2_b64 v[32:35], v172 offset0:55 offset1:118
	ds_read2_b64 v[4:7], v171 offset0:47 offset1:110
	;; [unrolled: 1-line block ×9, first 2 shown]
	s_waitcnt lgkmcnt(0)
	; wave barrier
	s_waitcnt lgkmcnt(0)
	ds_write2_b64 v131, v[142:143], v[104:105] offset1:3
	v_add_f64 v[104:105], v[122:123], v[44:45]
	v_add_f64 v[44:45], v[44:45], v[70:71]
	v_fmac_f64_e32 v[122:123], -0.5, v[44:45]
	v_add_f64 v[36:37], v[36:37], -v[52:53]
	v_fmac_f64_e32 v[120:121], s[2:3], v[144:145]
	v_add_f64 v[104:105], v[104:105], v[70:71]
	v_fma_f64 v[44:45], s[6:7], v[36:37], v[122:123]
	ds_write_b64 v131, v[120:121] offset:48
	ds_write2_b64 v156, v[104:105], v[44:45] offset1:3
	v_add_f64 v[44:45], v[90:91], v[46:47]
	v_fmac_f64_e32 v[122:123], s[2:3], v[36:37]
	v_add_f64 v[36:37], v[124:125], v[90:91]
	v_fmac_f64_e32 v[124:125], -0.5, v[44:45]
	v_add_f64 v[38:39], v[54:55], -v[38:39]
	v_add_f64 v[36:37], v[36:37], v[46:47]
	v_fma_f64 v[44:45], s[6:7], v[38:39], v[124:125]
	v_fmac_f64_e32 v[124:125], s[2:3], v[38:39]
	v_add_f64 v[38:39], v[48:49], v[92:93]
	ds_write_b64 v156, v[122:123] offset:48
	ds_write2_b64 v154, v[36:37], v[44:45] offset1:3
	v_add_f64 v[36:37], v[126:127], v[48:49]
	v_fmac_f64_e32 v[126:127], -0.5, v[38:39]
	v_add_f64 v[38:39], v[40:41], -v[56:57]
	v_add_f64 v[36:37], v[36:37], v[92:93]
	v_fma_f64 v[40:41], s[6:7], v[38:39], v[126:127]
	v_fmac_f64_e32 v[126:127], s[2:3], v[38:39]
	v_add_f64 v[38:39], v[96:97], v[58:59]
	ds_write_b64 v154, v[124:125] offset:48
	ds_write2_b64 v152, v[36:37], v[40:41] offset1:3
	v_add_f64 v[36:37], v[128:129], v[96:97]
	v_fmac_f64_e32 v[128:129], -0.5, v[38:39]
	v_add_f64 v[38:39], v[64:65], -v[42:43]
	v_add_f64 v[42:43], v[68:69], v[102:103]
	v_fma_f64 v[40:41], s[6:7], v[38:39], v[128:129]
	v_fmac_f64_e32 v[128:129], s[2:3], v[38:39]
	v_add_f64 v[38:39], v[132:133], v[68:69]
	v_fmac_f64_e32 v[132:133], -0.5, v[42:43]
	v_add_f64 v[42:43], v[50:51], -v[94:95]
	v_add_f64 v[46:47], v[108:109], v[98:99]
	v_fma_f64 v[44:45], s[6:7], v[42:43], v[132:133]
	v_fmac_f64_e32 v[132:133], s[2:3], v[42:43]
	;; [unrolled: 6-line block ×4, first 2 shown]
	v_add_f64 v[50:51], v[188:189], v[114:115]
	v_fmac_f64_e32 v[188:189], -0.5, v[54:55]
	v_add_f64 v[54:55], v[110:111], -v[60:61]
	v_fma_f64 v[56:57], s[6:7], v[54:55], v[188:189]
	v_add_f64 v[36:37], v[36:37], v[58:59]
	v_add_f64 v[38:39], v[38:39], v[102:103]
	;; [unrolled: 1-line block ×5, first 2 shown]
	v_fmac_f64_e32 v[188:189], s[2:3], v[54:55]
	ds_write_b64 v152, v[126:127] offset:48
	ds_write2_b64 v150, v[36:37], v[40:41] offset1:3
	ds_write_b64 v150, v[128:129] offset:48
	ds_write2_b64 v148, v[38:39], v[44:45] offset1:3
	;; [unrolled: 2-line block ×5, first 2 shown]
	ds_write_b64 v149, v[188:189] offset:48
	v_mov_b32_e32 v56, 57
	v_mul_lo_u16_sdwa v36, v162, v56 dst_sel:DWORD dst_unused:UNUSED_PAD src0_sel:BYTE_0 src1_sel:DWORD
	v_lshrrev_b16_e32 v120, 9, v36
	v_mul_lo_u16_e32 v36, 9, v120
	v_sub_u16_e32 v121, v162, v36
	v_mul_lo_u16_sdwa v40, v166, v56 dst_sel:DWORD dst_unused:UNUSED_PAD src0_sel:BYTE_0 src1_sel:DWORD
	v_lshlrev_b32_sdwa v90, v158, v121 dst_sel:DWORD dst_unused:UNUSED_PAD src0_sel:DWORD src1_sel:BYTE_0
	v_lshrrev_b16_e32 v122, 9, v40
	s_waitcnt lgkmcnt(0)
	; wave barrier
	s_waitcnt lgkmcnt(0)
	global_load_dwordx4 v[36:39], v90, s[4:5] offset:96
	v_mul_lo_u16_e32 v40, 9, v122
	v_sub_u16_e32 v123, v166, v40
	v_lshlrev_b32_sdwa v48, v158, v123 dst_sel:DWORD dst_unused:UNUSED_PAD src0_sel:DWORD src1_sel:BYTE_0
	global_load_dwordx4 v[44:47], v48, s[4:5] offset:96
	global_load_dwordx4 v[40:43], v48, s[4:5] offset:112
	v_mul_lo_u16_sdwa v48, v165, v56 dst_sel:DWORD dst_unused:UNUSED_PAD src0_sel:BYTE_0 src1_sel:DWORD
	v_lshrrev_b16_e32 v124, 9, v48
	v_mul_lo_u16_e32 v48, 9, v124
	v_sub_u16_e32 v125, v165, v48
	v_lshlrev_b32_sdwa v57, v158, v125 dst_sel:DWORD dst_unused:UNUSED_PAD src0_sel:DWORD src1_sel:BYTE_0
	global_load_dwordx4 v[48:51], v57, s[4:5] offset:112
	global_load_dwordx4 v[52:55], v57, s[4:5] offset:96
	v_mul_lo_u16_sdwa v56, v163, v56 dst_sel:DWORD dst_unused:UNUSED_PAD src0_sel:BYTE_0 src1_sel:DWORD
	v_lshrrev_b16_e32 v126, 9, v56
	v_mul_lo_u16_e32 v56, 9, v126
	v_sub_u16_e32 v127, v163, v56
	v_lshlrev_b32_sdwa v64, v158, v127 dst_sel:DWORD dst_unused:UNUSED_PAD src0_sel:DWORD src1_sel:BYTE_0
	global_load_dwordx4 v[60:63], v64, s[4:5] offset:96
	global_load_dwordx4 v[56:59], v64, s[4:5] offset:112
	s_mov_b32 s0, 0xe38f
	v_mul_u32_u24_sdwa v64, v138, s0 dst_sel:DWORD dst_unused:UNUSED_PAD src0_sel:WORD_0 src1_sel:DWORD
	v_lshrrev_b32_e32 v128, 19, v64
	v_mul_lo_u16_e32 v64, 9, v128
	v_sub_u16_e32 v129, v138, v64
	v_lshlrev_b32_e32 v68, 5, v129
	global_load_dwordx4 v[64:67], v68, s[4:5] offset:112
	s_nop 0
	global_load_dwordx4 v[68:71], v68, s[4:5] offset:96
	v_mul_u32_u24_sdwa v91, v139, s0 dst_sel:DWORD dst_unused:UNUSED_PAD src0_sel:WORD_0 src1_sel:DWORD
	v_lshrrev_b32_e32 v131, 19, v91
	v_mul_lo_u16_e32 v91, 9, v131
	v_sub_u16_e32 v132, v139, v91
	v_lshlrev_b32_e32 v91, 5, v132
	global_load_dwordx4 v[98:101], v91, s[4:5] offset:96
	global_load_dwordx4 v[102:105], v91, s[4:5] offset:112
	v_mul_u32_u24_sdwa v91, v140, s0 dst_sel:DWORD dst_unused:UNUSED_PAD src0_sel:WORD_0 src1_sel:DWORD
	v_lshrrev_b32_e32 v133, 19, v91
	v_mul_lo_u16_e32 v91, 9, v133
	v_sub_u16_e32 v159, v140, v91
	v_lshlrev_b32_e32 v91, 5, v159
	global_load_dwordx4 v[106:109], v91, s[4:5] offset:112
	;; [unrolled: 7-line block ×4, first 2 shown]
	global_load_dwordx4 v[150:153], v91, s[4:5] offset:112
	global_load_dwordx4 v[154:157], v94, s[4:5] offset:112
	ds_read2_b64 v[90:93], v172 offset0:55 offset1:118
	ds_read2_b64 v[188:191], v171 offset0:173 offset1:236
	s_movk_i32 s0, 0x2f69
	s_waitcnt vmcnt(17) lgkmcnt(1)
	v_mul_f64 v[94:95], v[90:91], v[38:39]
	v_fma_f64 v[118:119], v[32:33], v[36:37], -v[94:95]
	v_mul_f64 v[32:33], v[32:33], v[38:39]
	v_fmac_f64_e32 v[32:33], v[90:91], v[36:37]
	s_waitcnt vmcnt(16)
	v_mul_f64 v[36:37], v[92:93], v[46:47]
	v_fma_f64 v[36:37], v[34:35], v[44:45], -v[36:37]
	v_mul_f64 v[46:47], v[34:35], v[46:47]
	s_waitcnt vmcnt(15) lgkmcnt(0)
	v_mul_f64 v[34:35], v[188:189], v[42:43]
	v_mul_f64 v[94:95], v[28:29], v[42:43]
	v_fma_f64 v[90:91], v[28:29], v[40:41], -v[34:35]
	v_fmac_f64_e32 v[94:95], v[188:189], v[40:41]
	ds_read2_b64 v[40:43], v172 offset0:181 offset1:244
	s_waitcnt vmcnt(14)
	v_mul_f64 v[28:29], v[190:191], v[50:51]
	v_fma_f64 v[38:39], v[30:31], v[48:49], -v[28:29]
	v_fmac_f64_e32 v[46:47], v[92:93], v[44:45]
	v_mul_f64 v[44:45], v[30:31], v[50:51]
	s_waitcnt vmcnt(13) lgkmcnt(0)
	v_mul_f64 v[28:29], v[40:41], v[54:55]
	v_fma_f64 v[92:93], v[24:25], v[52:53], -v[28:29]
	ds_read2_b64 v[28:31], v174 offset0:43 offset1:106
	v_mul_f64 v[96:97], v[24:25], v[54:55]
	s_waitcnt vmcnt(12)
	v_mul_f64 v[24:25], v[42:43], v[62:63]
	v_fmac_f64_e32 v[96:97], v[40:41], v[52:53]
	v_fma_f64 v[40:41], v[26:27], v[60:61], -v[24:25]
	s_waitcnt vmcnt(11) lgkmcnt(0)
	v_mul_f64 v[24:25], v[28:29], v[58:59]
	v_fmac_f64_e32 v[44:45], v[190:191], v[48:49]
	v_mul_f64 v[48:49], v[26:27], v[62:63]
	v_fma_f64 v[52:53], v[20:21], v[56:57], -v[24:25]
	ds_read2_b64 v[24:27], v173 offset0:51 offset1:114
	v_mul_f64 v[62:63], v[20:21], v[58:59]
	s_waitcnt vmcnt(10)
	v_mul_f64 v[20:21], v[30:31], v[66:67]
	v_fmac_f64_e32 v[48:49], v[42:43], v[60:61]
	v_fma_f64 v[42:43], v[22:23], v[64:65], -v[20:21]
	s_waitcnt vmcnt(9) lgkmcnt(0)
	v_mul_f64 v[20:21], v[24:25], v[70:71]
	v_fmac_f64_e32 v[62:63], v[28:29], v[56:57]
	v_mul_f64 v[54:55], v[22:23], v[66:67]
	v_fma_f64 v[56:57], v[16:17], v[68:69], -v[20:21]
	ds_read2_b64 v[20:23], v174 offset0:169 offset1:232
	v_mul_f64 v[66:67], v[16:17], v[70:71]
	s_waitcnt vmcnt(8)
	v_mul_f64 v[16:17], v[26:27], v[100:101]
	v_fma_f64 v[50:51], v[18:19], v[98:99], -v[16:17]
	v_fmac_f64_e32 v[54:55], v[30:31], v[64:65]
	s_waitcnt vmcnt(7) lgkmcnt(0)
	v_mul_f64 v[16:17], v[20:21], v[104:105]
	v_mul_f64 v[60:61], v[18:19], v[100:101]
	v_fma_f64 v[64:65], v[12:13], v[102:103], -v[16:17]
	ds_read2_b64 v[16:19], v173 offset0:177 offset1:240
	v_fmac_f64_e32 v[60:61], v[26:27], v[98:99]
	v_mul_f64 v[98:99], v[12:13], v[104:105]
	s_waitcnt vmcnt(6)
	v_mul_f64 v[12:13], v[22:23], v[108:109]
	v_fma_f64 v[58:59], v[14:15], v[106:107], -v[12:13]
	s_waitcnt vmcnt(5) lgkmcnt(0)
	v_mul_f64 v[12:13], v[16:17], v[112:113]
	v_fmac_f64_e32 v[66:67], v[24:25], v[68:69]
	v_mul_f64 v[68:69], v[14:15], v[108:109]
	v_fma_f64 v[70:71], v[8:9], v[110:111], -v[12:13]
	ds_read2_b64 v[12:15], v171 offset0:47 offset1:110
	v_fmac_f64_e32 v[98:99], v[20:21], v[102:103]
	v_mul_f64 v[102:103], v[8:9], v[112:113]
	s_waitcnt vmcnt(4)
	v_mul_f64 v[8:9], v[18:19], v[116:117]
	v_fma_f64 v[100:101], v[10:11], v[114:115], -v[8:9]
	s_waitcnt vmcnt(3) lgkmcnt(0)
	v_mul_f64 v[8:9], v[14:15], v[144:145]
	v_fma_f64 v[8:9], v[6:7], v[142:143], -v[8:9]
	v_mul_f64 v[6:7], v[6:7], v[144:145]
	v_fmac_f64_e32 v[102:103], v[16:17], v[110:111]
	v_fmac_f64_e32 v[6:7], v[14:15], v[142:143]
	ds_read2_b64 v[14:17], v187 offset0:39 offset1:102
	v_fmac_f64_e32 v[68:69], v[22:23], v[106:107]
	v_mul_f64 v[106:107], v[10:11], v[116:117]
	s_waitcnt vmcnt(2)
	v_mul_f64 v[10:11], v[12:13], v[148:149]
	v_fma_f64 v[104:105], v[4:5], v[146:147], -v[10:11]
	v_mul_f64 v[108:109], v[4:5], v[148:149]
	s_waitcnt vmcnt(1) lgkmcnt(0)
	v_mul_f64 v[4:5], v[14:15], v[152:153]
	v_fma_f64 v[112:113], v[0:1], v[150:151], -v[4:5]
	v_mul_f64 v[116:117], v[0:1], v[152:153]
	s_waitcnt vmcnt(0)
	v_mul_f64 v[0:1], v[16:17], v[156:157]
	v_fmac_f64_e32 v[106:107], v[18:19], v[114:115]
	v_fma_f64 v[110:111], v[2:3], v[154:155], -v[0:1]
	v_mul_f64 v[114:115], v[2:3], v[156:157]
	v_add_f64 v[2:3], v[118:119], v[8:9]
	v_add_f64 v[0:1], v[88:89], v[118:119]
	v_fmac_f64_e32 v[88:89], -0.5, v[2:3]
	v_mul_u32_u24_e32 v2, 0xd8, v120
	v_lshlrev_b32_sdwa v3, v130, v121 dst_sel:DWORD dst_unused:UNUSED_PAD src0_sel:DWORD src1_sel:BYTE_0
	v_add3_u32 v156, 0, v2, v3
	v_add_f64 v[2:3], v[32:33], -v[6:7]
	v_add_f64 v[0:1], v[0:1], v[8:9]
	v_fma_f64 v[4:5], s[2:3], v[2:3], v[88:89]
	v_fmac_f64_e32 v[88:89], s[6:7], v[2:3]
	v_add_f64 v[2:3], v[36:37], v[90:91]
	v_fmac_f64_e32 v[108:109], v[12:13], v[146:147]
	v_fmac_f64_e32 v[116:117], v[14:15], v[150:151]
	;; [unrolled: 1-line block ×3, first 2 shown]
	ds_read_b64 v[120:121], v170
	ds_read_b64 v[134:135], v178
	ds_read_b64 v[142:143], v179
	ds_read_b64 v[144:145], v186
	ds_read_b64 v[146:147], v181
	ds_read_b64 v[148:149], v182
	ds_read_b64 v[150:151], v183
	ds_read_b64 v[152:153], v184
	ds_read_b64 v[154:155], v185
	s_waitcnt lgkmcnt(0)
	; wave barrier
	s_waitcnt lgkmcnt(0)
	ds_write2_b64 v156, v[0:1], v[4:5] offset1:9
	v_add_f64 v[0:1], v[86:87], v[36:37]
	v_fmac_f64_e32 v[86:87], -0.5, v[2:3]
	v_mul_u32_u24_e32 v2, 0xd8, v122
	v_lshlrev_b32_sdwa v3, v130, v123 dst_sel:DWORD dst_unused:UNUSED_PAD src0_sel:DWORD src1_sel:BYTE_0
	v_add3_u32 v157, 0, v2, v3
	v_add_f64 v[2:3], v[46:47], -v[94:95]
	v_add_f64 v[0:1], v[0:1], v[90:91]
	v_fma_f64 v[4:5], s[2:3], v[2:3], v[86:87]
	v_fmac_f64_e32 v[86:87], s[6:7], v[2:3]
	v_add_f64 v[2:3], v[92:93], v[38:39]
	ds_write_b64 v156, v[88:89] offset:144
	ds_write2_b64 v157, v[0:1], v[4:5] offset1:9
	v_add_f64 v[0:1], v[84:85], v[92:93]
	v_fmac_f64_e32 v[84:85], -0.5, v[2:3]
	v_mul_u32_u24_e32 v2, 0xd8, v124
	v_lshlrev_b32_sdwa v3, v130, v125 dst_sel:DWORD dst_unused:UNUSED_PAD src0_sel:DWORD src1_sel:BYTE_0
	v_add3_u32 v188, 0, v2, v3
	v_add_f64 v[2:3], v[96:97], -v[44:45]
	v_add_f64 v[0:1], v[0:1], v[38:39]
	v_fma_f64 v[4:5], s[2:3], v[2:3], v[84:85]
	v_fmac_f64_e32 v[84:85], s[6:7], v[2:3]
	v_add_f64 v[2:3], v[40:41], v[52:53]
	ds_write_b64 v157, v[86:87] offset:144
	ds_write2_b64 v188, v[0:1], v[4:5] offset1:9
	v_add_f64 v[0:1], v[82:83], v[40:41]
	v_fmac_f64_e32 v[82:83], -0.5, v[2:3]
	v_mul_u32_u24_e32 v2, 0xd8, v126
	v_lshlrev_b32_sdwa v3, v130, v127 dst_sel:DWORD dst_unused:UNUSED_PAD src0_sel:DWORD src1_sel:BYTE_0
	v_add3_u32 v126, 0, v2, v3
	v_add_f64 v[2:3], v[48:49], -v[62:63]
	v_add_f64 v[0:1], v[0:1], v[52:53]
	v_fma_f64 v[4:5], s[2:3], v[2:3], v[82:83]
	v_fmac_f64_e32 v[82:83], s[6:7], v[2:3]
	v_add_f64 v[2:3], v[56:57], v[42:43]
	ds_write_b64 v188, v[84:85] offset:144
	ds_write2_b64 v126, v[0:1], v[4:5] offset1:9
	v_add_f64 v[0:1], v[80:81], v[56:57]
	v_fmac_f64_e32 v[80:81], -0.5, v[2:3]
	v_mul_u32_u24_e32 v2, 0xd8, v128
	v_lshlrev_b32_e32 v3, 3, v129
	v_add3_u32 v127, 0, v2, v3
	v_add_f64 v[2:3], v[66:67], -v[54:55]
	v_add_f64 v[0:1], v[0:1], v[42:43]
	v_fma_f64 v[4:5], s[2:3], v[2:3], v[80:81]
	v_fmac_f64_e32 v[80:81], s[6:7], v[2:3]
	v_add_f64 v[2:3], v[50:51], v[64:65]
	ds_write_b64 v126, v[82:83] offset:144
	ds_write2_b64 v127, v[0:1], v[4:5] offset1:9
	v_add_f64 v[0:1], v[78:79], v[50:51]
	v_fmac_f64_e32 v[78:79], -0.5, v[2:3]
	v_mul_u32_u24_e32 v2, 0xd8, v131
	v_lshlrev_b32_e32 v3, 3, v132
	v_add3_u32 v128, 0, v2, v3
	v_add_f64 v[2:3], v[60:61], -v[98:99]
	v_add_f64 v[0:1], v[0:1], v[64:65]
	v_fma_f64 v[4:5], s[2:3], v[2:3], v[78:79]
	v_fmac_f64_e32 v[78:79], s[6:7], v[2:3]
	v_add_f64 v[2:3], v[70:71], v[58:59]
	ds_write_b64 v127, v[80:81] offset:144
	;; [unrolled: 12-line block ×4, first 2 shown]
	ds_write2_b64 v131, v[0:1], v[4:5] offset1:9
	v_add_f64 v[0:1], v[72:73], v[104:105]
	v_fmac_f64_e32 v[72:73], -0.5, v[2:3]
	v_mul_u32_u24_e32 v2, 0xd8, v192
	v_lshlrev_b32_e32 v3, 3, v193
	v_add3_u32 v132, 0, v2, v3
	v_add_f64 v[2:3], v[108:109], -v[114:115]
	v_add_f64 v[0:1], v[0:1], v[110:111]
	v_fma_f64 v[4:5], s[2:3], v[2:3], v[72:73]
	ds_write_b64 v131, v[74:75] offset:144
	ds_write2_b64 v132, v[0:1], v[4:5] offset1:9
	v_add_f64 v[0:1], v[120:121], v[32:33]
	v_add_f64 v[122:123], v[0:1], v[6:7]
	v_add_f64 v[0:1], v[32:33], v[6:7]
	v_fmac_f64_e32 v[120:121], -0.5, v[0:1]
	v_add_f64 v[118:119], v[118:119], -v[8:9]
	v_fma_f64 v[124:125], s[6:7], v[118:119], v[120:121]
	v_fmac_f64_e32 v[120:121], s[2:3], v[118:119]
	v_add_f64 v[118:119], v[134:135], v[46:47]
	v_add_f64 v[46:47], v[46:47], v[94:95]
	v_fmac_f64_e32 v[134:135], -0.5, v[46:47]
	v_add_f64 v[36:37], v[36:37], -v[90:91]
	v_fma_f64 v[46:47], s[6:7], v[36:37], v[134:135]
	v_fmac_f64_e32 v[134:135], s[2:3], v[36:37]
	v_add_f64 v[36:37], v[142:143], v[96:97]
	v_add_f64 v[36:37], v[36:37], v[44:45]
	;; [unrolled: 1-line block ×3, first 2 shown]
	v_fmac_f64_e32 v[142:143], -0.5, v[44:45]
	v_add_f64 v[38:39], v[92:93], -v[38:39]
	v_fmac_f64_e32 v[72:73], s[6:7], v[2:3]
	v_add_f64 v[118:119], v[118:119], v[94:95]
	v_fma_f64 v[44:45], s[6:7], v[38:39], v[142:143]
	v_fmac_f64_e32 v[142:143], s[2:3], v[38:39]
	v_add_f64 v[38:39], v[48:49], v[62:63]
	ds_write_b64 v132, v[72:73] offset:144
	s_waitcnt lgkmcnt(0)
	; wave barrier
	s_waitcnt lgkmcnt(0)
	ds_read_b64 v[88:89], v170
	ds_read_b64 v[86:87], v178
	;; [unrolled: 1-line block ×9, first 2 shown]
	ds_read2_b64 v[32:35], v172 offset0:55 offset1:118
	ds_read2_b64 v[4:7], v171 offset0:47 offset1:110
	;; [unrolled: 1-line block ×9, first 2 shown]
	s_waitcnt lgkmcnt(0)
	; wave barrier
	s_waitcnt lgkmcnt(0)
	ds_write2_b64 v156, v[122:123], v[124:125] offset1:9
	ds_write_b64 v156, v[120:121] offset:144
	ds_write2_b64 v157, v[118:119], v[46:47] offset1:9
	ds_write_b64 v157, v[134:135] offset:144
	ds_write2_b64 v188, v[36:37], v[44:45] offset1:9
	v_add_f64 v[36:37], v[144:145], v[48:49]
	v_fmac_f64_e32 v[144:145], -0.5, v[38:39]
	v_add_f64 v[38:39], v[40:41], -v[52:53]
	v_add_f64 v[36:37], v[36:37], v[62:63]
	v_fma_f64 v[40:41], s[6:7], v[38:39], v[144:145]
	v_fmac_f64_e32 v[144:145], s[2:3], v[38:39]
	v_add_f64 v[38:39], v[66:67], v[54:55]
	ds_write_b64 v188, v[142:143] offset:144
	ds_write2_b64 v126, v[36:37], v[40:41] offset1:9
	v_add_f64 v[36:37], v[146:147], v[66:67]
	v_fmac_f64_e32 v[146:147], -0.5, v[38:39]
	v_add_f64 v[38:39], v[56:57], -v[42:43]
	v_add_f64 v[42:43], v[60:61], v[98:99]
	v_fma_f64 v[40:41], s[6:7], v[38:39], v[146:147]
	v_fmac_f64_e32 v[146:147], s[2:3], v[38:39]
	v_add_f64 v[38:39], v[148:149], v[60:61]
	v_fmac_f64_e32 v[148:149], -0.5, v[42:43]
	v_add_f64 v[42:43], v[50:51], -v[64:65]
	v_add_f64 v[46:47], v[102:103], v[68:69]
	v_fma_f64 v[44:45], s[6:7], v[42:43], v[148:149]
	v_fmac_f64_e32 v[148:149], s[2:3], v[42:43]
	v_add_f64 v[42:43], v[150:151], v[102:103]
	v_fmac_f64_e32 v[150:151], -0.5, v[46:47]
	v_add_f64 v[46:47], v[70:71], -v[58:59]
	v_add_f64 v[50:51], v[106:107], v[116:117]
	v_add_f64 v[36:37], v[36:37], v[54:55]
	v_fma_f64 v[48:49], s[6:7], v[46:47], v[150:151]
	v_fmac_f64_e32 v[150:151], s[2:3], v[46:47]
	v_add_f64 v[46:47], v[152:153], v[106:107]
	v_fmac_f64_e32 v[152:153], -0.5, v[50:51]
	v_add_f64 v[50:51], v[100:101], -v[112:113]
	v_add_f64 v[54:55], v[108:109], v[114:115]
	v_fma_f64 v[52:53], s[6:7], v[50:51], v[152:153]
	v_fmac_f64_e32 v[152:153], s[2:3], v[50:51]
	v_add_f64 v[50:51], v[154:155], v[108:109]
	v_fmac_f64_e32 v[154:155], -0.5, v[54:55]
	v_add_f64 v[54:55], v[104:105], -v[110:111]
	v_fma_f64 v[56:57], s[6:7], v[54:55], v[154:155]
	v_add_f64 v[38:39], v[38:39], v[98:99]
	v_add_f64 v[42:43], v[42:43], v[68:69]
	;; [unrolled: 1-line block ×4, first 2 shown]
	v_fmac_f64_e32 v[154:155], s[2:3], v[54:55]
	ds_write_b64 v126, v[144:145] offset:144
	ds_write2_b64 v127, v[36:37], v[40:41] offset1:9
	ds_write_b64 v127, v[146:147] offset:144
	ds_write2_b64 v128, v[38:39], v[44:45] offset1:9
	;; [unrolled: 2-line block ×5, first 2 shown]
	ds_write_b64 v132, v[154:155] offset:144
	v_mov_b32_e32 v56, 19
	v_mul_lo_u16_sdwa v36, v162, v56 dst_sel:DWORD dst_unused:UNUSED_PAD src0_sel:BYTE_0 src1_sel:DWORD
	v_lshrrev_b16_e32 v126, 9, v36
	v_mul_lo_u16_e32 v36, 27, v126
	v_sub_u16_e32 v127, v162, v36
	v_lshlrev_b32_sdwa v90, v158, v127 dst_sel:DWORD dst_unused:UNUSED_PAD src0_sel:DWORD src1_sel:BYTE_0
	s_waitcnt lgkmcnt(0)
	; wave barrier
	s_waitcnt lgkmcnt(0)
	global_load_dwordx4 v[36:39], v90, s[4:5] offset:384
	v_mul_lo_u16_sdwa v40, v166, v56 dst_sel:DWORD dst_unused:UNUSED_PAD src0_sel:BYTE_0 src1_sel:DWORD
	v_lshrrev_b16_e32 v128, 9, v40
	v_mul_lo_u16_e32 v40, 27, v128
	v_sub_u16_e32 v129, v166, v40
	v_lshlrev_b32_sdwa v48, v158, v129 dst_sel:DWORD dst_unused:UNUSED_PAD src0_sel:DWORD src1_sel:BYTE_0
	global_load_dwordx4 v[44:47], v48, s[4:5] offset:384
	global_load_dwordx4 v[40:43], v48, s[4:5] offset:400
	v_mul_lo_u16_sdwa v48, v165, v56 dst_sel:DWORD dst_unused:UNUSED_PAD src0_sel:BYTE_0 src1_sel:DWORD
	v_lshrrev_b16_e32 v131, 9, v48
	v_mul_lo_u16_e32 v48, 27, v131
	v_sub_u16_e32 v132, v165, v48
	v_lshlrev_b32_sdwa v57, v158, v132 dst_sel:DWORD dst_unused:UNUSED_PAD src0_sel:DWORD src1_sel:BYTE_0
	v_mul_lo_u16_sdwa v56, v163, v56 dst_sel:DWORD dst_unused:UNUSED_PAD src0_sel:BYTE_0 src1_sel:DWORD
	global_load_dwordx4 v[48:51], v57, s[4:5] offset:400
	global_load_dwordx4 v[52:55], v57, s[4:5] offset:384
	v_lshrrev_b16_e32 v133, 9, v56
	v_mul_lo_u16_e32 v56, 27, v133
	v_sub_u16_e32 v134, v163, v56
	v_lshlrev_b32_sdwa v64, v158, v134 dst_sel:DWORD dst_unused:UNUSED_PAD src0_sel:DWORD src1_sel:BYTE_0
	global_load_dwordx4 v[60:63], v64, s[4:5] offset:384
	global_load_dwordx4 v[56:59], v64, s[4:5] offset:400
	v_mul_u32_u24_sdwa v64, v138, s0 dst_sel:DWORD dst_unused:UNUSED_PAD src0_sel:WORD_0 src1_sel:DWORD
	v_sub_u16_sdwa v65, v138, v64 dst_sel:DWORD dst_unused:UNUSED_PAD src0_sel:DWORD src1_sel:WORD_1
	v_lshrrev_b16_e32 v65, 1, v65
	v_mul_u32_u24_sdwa v91, v139, s0 dst_sel:DWORD dst_unused:UNUSED_PAD src0_sel:WORD_0 src1_sel:DWORD
	v_add_u16_sdwa v64, v65, v64 dst_sel:DWORD dst_unused:UNUSED_PAD src0_sel:DWORD src1_sel:WORD_1
	v_sub_u16_sdwa v92, v139, v91 dst_sel:DWORD dst_unused:UNUSED_PAD src0_sel:DWORD src1_sel:WORD_1
	v_lshrrev_b16_e32 v142, 4, v64
	v_lshrrev_b16_e32 v92, 1, v92
	v_mul_lo_u16_e32 v64, 27, v142
	v_add_u16_sdwa v91, v92, v91 dst_sel:DWORD dst_unused:UNUSED_PAD src0_sel:DWORD src1_sel:WORD_1
	v_sub_u16_e32 v135, v138, v64
	v_lshrrev_b16_e32 v144, 4, v91
	v_lshlrev_b32_e32 v68, 5, v135
	v_mul_lo_u16_e32 v91, 27, v144
	global_load_dwordx4 v[64:67], v68, s[4:5] offset:400
	s_nop 0
	global_load_dwordx4 v[68:71], v68, s[4:5] offset:384
	v_sub_u16_e32 v143, v139, v91
	v_lshlrev_b32_e32 v91, 5, v143
	global_load_dwordx4 v[104:107], v91, s[4:5] offset:384
	global_load_dwordx4 v[108:111], v91, s[4:5] offset:400
	v_mul_u32_u24_sdwa v91, v140, s0 dst_sel:DWORD dst_unused:UNUSED_PAD src0_sel:WORD_0 src1_sel:DWORD
	v_sub_u16_sdwa v92, v140, v91 dst_sel:DWORD dst_unused:UNUSED_PAD src0_sel:DWORD src1_sel:WORD_1
	v_lshrrev_b16_e32 v92, 1, v92
	v_add_u16_sdwa v91, v92, v91 dst_sel:DWORD dst_unused:UNUSED_PAD src0_sel:DWORD src1_sel:WORD_1
	v_lshrrev_b16_e32 v146, 4, v91
	v_mul_lo_u16_e32 v91, 27, v146
	v_sub_u16_e32 v145, v140, v91
	v_lshlrev_b32_e32 v91, 5, v145
	global_load_dwordx4 v[112:115], v91, s[4:5] offset:400
	global_load_dwordx4 v[116:119], v91, s[4:5] offset:384
	v_mul_u32_u24_sdwa v91, v141, s0 dst_sel:DWORD dst_unused:UNUSED_PAD src0_sel:WORD_0 src1_sel:DWORD
	v_sub_u16_sdwa v92, v141, v91 dst_sel:DWORD dst_unused:UNUSED_PAD src0_sel:DWORD src1_sel:WORD_1
	v_lshrrev_b16_e32 v92, 1, v92
	v_add_u16_sdwa v91, v92, v91 dst_sel:DWORD dst_unused:UNUSED_PAD src0_sel:DWORD src1_sel:WORD_1
	v_lshrrev_b16_e32 v147, 4, v91
	v_mul_lo_u16_e32 v91, 27, v147
	;; [unrolled: 10-line block ×3, first 2 shown]
	v_sub_u16_e32 v197, v167, v90
	v_lshlrev_b32_e32 v90, 5, v197
	global_load_dwordx4 v[152:155], v90, s[4:5] offset:384
	global_load_dwordx4 v[188:191], v91, s[4:5] offset:400
	;; [unrolled: 1-line block ×3, first 2 shown]
	ds_read2_b64 v[92:95], v172 offset0:55 offset1:118
	s_movk_i32 s0, 0x288
	s_waitcnt vmcnt(17) lgkmcnt(0)
	v_mul_f64 v[90:91], v[92:93], v[38:39]
	v_fma_f64 v[124:125], v[32:33], v[36:37], -v[90:91]
	v_mul_f64 v[32:33], v[32:33], v[38:39]
	v_fmac_f64_e32 v[32:33], v[92:93], v[36:37]
	ds_read2_b64 v[36:39], v171 offset0:173 offset1:236
	s_waitcnt vmcnt(16)
	v_mul_f64 v[90:91], v[94:95], v[46:47]
	v_fma_f64 v[90:91], v[34:35], v[44:45], -v[90:91]
	v_mul_f64 v[92:93], v[34:35], v[46:47]
	s_waitcnt vmcnt(15)
	v_mul_f64 v[98:99], v[28:29], v[42:43]
	s_waitcnt lgkmcnt(0)
	v_mul_f64 v[34:35], v[36:37], v[42:43]
	v_fmac_f64_e32 v[92:93], v[94:95], v[44:45]
	v_fma_f64 v[94:95], v[28:29], v[40:41], -v[34:35]
	v_fmac_f64_e32 v[98:99], v[36:37], v[40:41]
	ds_read2_b64 v[34:37], v172 offset0:181 offset1:244
	s_waitcnt vmcnt(14)
	v_mul_f64 v[28:29], v[38:39], v[50:51]
	v_fma_f64 v[42:43], v[30:31], v[48:49], -v[28:29]
	v_mul_f64 v[50:51], v[30:31], v[50:51]
	s_waitcnt vmcnt(13)
	v_mul_f64 v[100:101], v[24:25], v[54:55]
	s_waitcnt lgkmcnt(0)
	v_mul_f64 v[28:29], v[34:35], v[54:55]
	v_fma_f64 v[96:97], v[24:25], v[52:53], -v[28:29]
	ds_read2_b64 v[28:31], v174 offset0:43 offset1:106
	s_waitcnt vmcnt(12)
	v_mul_f64 v[24:25], v[36:37], v[62:63]
	v_fmac_f64_e32 v[100:101], v[34:35], v[52:53]
	v_fma_f64 v[44:45], v[26:27], v[60:61], -v[24:25]
	v_mul_f64 v[52:53], v[26:27], v[62:63]
	s_waitcnt vmcnt(11) lgkmcnt(0)
	v_mul_f64 v[24:25], v[28:29], v[58:59]
	v_fmac_f64_e32 v[52:53], v[36:37], v[60:61]
	v_fma_f64 v[60:61], v[20:21], v[56:57], -v[24:25]
	ds_read2_b64 v[24:27], v173 offset0:51 offset1:114
	v_mul_f64 v[102:103], v[20:21], v[58:59]
	v_fmac_f64_e32 v[102:103], v[28:29], v[56:57]
	v_fmac_f64_e32 v[50:51], v[38:39], v[48:49]
	s_waitcnt vmcnt(10)
	v_mul_f64 v[20:21], v[30:31], v[66:67]
	v_fma_f64 v[46:47], v[22:23], v[64:65], -v[20:21]
	s_waitcnt vmcnt(9) lgkmcnt(0)
	v_mul_f64 v[20:21], v[24:25], v[70:71]
	v_mul_f64 v[54:55], v[22:23], v[66:67]
	v_fma_f64 v[56:57], v[16:17], v[68:69], -v[20:21]
	ds_read2_b64 v[20:23], v174 offset0:169 offset1:232
	v_mul_f64 v[66:67], v[16:17], v[70:71]
	s_waitcnt vmcnt(8)
	v_mul_f64 v[16:17], v[26:27], v[106:107]
	v_fma_f64 v[48:49], v[18:19], v[104:105], -v[16:17]
	v_fmac_f64_e32 v[54:55], v[30:31], v[64:65]
	s_waitcnt vmcnt(7) lgkmcnt(0)
	v_mul_f64 v[16:17], v[20:21], v[110:111]
	v_mul_f64 v[62:63], v[18:19], v[106:107]
	v_fma_f64 v[64:65], v[12:13], v[108:109], -v[16:17]
	ds_read2_b64 v[16:19], v173 offset0:177 offset1:240
	v_fmac_f64_e32 v[62:63], v[26:27], v[104:105]
	v_mul_f64 v[104:105], v[12:13], v[110:111]
	s_waitcnt vmcnt(6)
	v_mul_f64 v[12:13], v[22:23], v[114:115]
	v_fma_f64 v[58:59], v[14:15], v[112:113], -v[12:13]
	s_waitcnt vmcnt(5) lgkmcnt(0)
	v_mul_f64 v[12:13], v[16:17], v[118:119]
	v_fmac_f64_e32 v[66:67], v[24:25], v[68:69]
	v_mul_f64 v[68:69], v[14:15], v[114:115]
	v_fma_f64 v[70:71], v[8:9], v[116:117], -v[12:13]
	ds_read2_b64 v[12:15], v171 offset0:47 offset1:110
	v_fmac_f64_e32 v[104:105], v[20:21], v[108:109]
	v_mul_f64 v[108:109], v[8:9], v[118:119]
	s_waitcnt vmcnt(3)
	v_mul_f64 v[8:9], v[18:19], v[150:151]
	v_fma_f64 v[106:107], v[10:11], v[148:149], -v[8:9]
	s_waitcnt lgkmcnt(0)
	v_mul_f64 v[8:9], v[14:15], v[122:123]
	v_fma_f64 v[8:9], v[6:7], v[120:121], -v[8:9]
	v_mul_f64 v[6:7], v[6:7], v[122:123]
	v_fmac_f64_e32 v[108:109], v[16:17], v[116:117]
	v_fmac_f64_e32 v[6:7], v[14:15], v[120:121]
	ds_read2_b64 v[14:17], v187 offset0:39 offset1:102
	v_fmac_f64_e32 v[68:69], v[22:23], v[112:113]
	v_mul_f64 v[112:113], v[10:11], v[150:151]
	s_waitcnt vmcnt(2)
	v_mul_f64 v[10:11], v[12:13], v[154:155]
	v_fma_f64 v[110:111], v[4:5], v[152:153], -v[10:11]
	v_mul_f64 v[114:115], v[4:5], v[154:155]
	s_waitcnt vmcnt(1) lgkmcnt(0)
	v_mul_f64 v[4:5], v[14:15], v[190:191]
	v_fma_f64 v[118:119], v[0:1], v[188:189], -v[4:5]
	v_mul_f64 v[122:123], v[0:1], v[190:191]
	s_waitcnt vmcnt(0)
	v_mul_f64 v[0:1], v[16:17], v[194:195]
	v_fma_f64 v[116:117], v[2:3], v[192:193], -v[0:1]
	v_mul_f64 v[120:121], v[2:3], v[194:195]
	v_add_f64 v[2:3], v[124:125], v[8:9]
	v_add_f64 v[0:1], v[88:89], v[124:125]
	v_fmac_f64_e32 v[88:89], -0.5, v[2:3]
	v_mul_u32_u24_e32 v2, 0x288, v126
	v_lshlrev_b32_sdwa v3, v130, v127 dst_sel:DWORD dst_unused:UNUSED_PAD src0_sel:DWORD src1_sel:BYTE_0
	v_fmac_f64_e32 v[120:121], v[16:17], v[192:193]
	v_add3_u32 v192, 0, v2, v3
	v_add_f64 v[2:3], v[32:33], -v[6:7]
	v_add_f64 v[0:1], v[0:1], v[8:9]
	v_fma_f64 v[4:5], s[2:3], v[2:3], v[88:89]
	v_fmac_f64_e32 v[88:89], s[6:7], v[2:3]
	v_add_f64 v[2:3], v[90:91], v[94:95]
	v_fmac_f64_e32 v[112:113], v[18:19], v[148:149]
	v_fmac_f64_e32 v[114:115], v[12:13], v[152:153]
	;; [unrolled: 1-line block ×3, first 2 shown]
	ds_read_b64 v[126:127], v170
	ds_read_b64 v[148:149], v178
	;; [unrolled: 1-line block ×9, first 2 shown]
	s_waitcnt lgkmcnt(0)
	; wave barrier
	s_waitcnt lgkmcnt(0)
	ds_write2_b64 v192, v[0:1], v[4:5] offset1:27
	v_add_f64 v[0:1], v[86:87], v[90:91]
	v_fmac_f64_e32 v[86:87], -0.5, v[2:3]
	v_mul_u32_u24_e32 v2, 0x288, v128
	v_lshlrev_b32_sdwa v3, v130, v129 dst_sel:DWORD dst_unused:UNUSED_PAD src0_sel:DWORD src1_sel:BYTE_0
	v_add3_u32 v128, 0, v2, v3
	v_add_f64 v[2:3], v[92:93], -v[98:99]
	v_add_f64 v[0:1], v[0:1], v[94:95]
	v_fma_f64 v[4:5], s[2:3], v[2:3], v[86:87]
	v_fmac_f64_e32 v[86:87], s[6:7], v[2:3]
	v_add_f64 v[2:3], v[96:97], v[42:43]
	ds_write_b64 v192, v[88:89] offset:432
	ds_write2_b64 v128, v[0:1], v[4:5] offset1:27
	v_add_f64 v[0:1], v[84:85], v[96:97]
	v_fmac_f64_e32 v[84:85], -0.5, v[2:3]
	v_mul_u32_u24_e32 v2, 0x288, v131
	v_lshlrev_b32_sdwa v3, v130, v132 dst_sel:DWORD dst_unused:UNUSED_PAD src0_sel:DWORD src1_sel:BYTE_0
	v_add3_u32 v129, 0, v2, v3
	v_add_f64 v[2:3], v[100:101], -v[50:51]
	v_add_f64 v[0:1], v[0:1], v[42:43]
	v_fma_f64 v[4:5], s[2:3], v[2:3], v[84:85]
	v_fmac_f64_e32 v[84:85], s[6:7], v[2:3]
	v_add_f64 v[2:3], v[44:45], v[60:61]
	ds_write_b64 v128, v[86:87] offset:432
	;; [unrolled: 12-line block ×3, first 2 shown]
	ds_write2_b64 v131, v[0:1], v[4:5] offset1:27
	v_add_f64 v[0:1], v[80:81], v[56:57]
	v_fmac_f64_e32 v[80:81], -0.5, v[2:3]
	v_perm_b32 v2, v144, v142, s10
	v_pk_mul_lo_u16 v10, v2, s0 op_sel_hi:[1,0]
	v_lshlrev_b32_e32 v2, 3, v135
	v_and_b32_e32 v3, 0xfff8, v10
	v_add3_u32 v132, 0, v3, v2
	v_add_f64 v[2:3], v[66:67], -v[54:55]
	v_add_f64 v[0:1], v[0:1], v[46:47]
	v_fma_f64 v[4:5], s[2:3], v[2:3], v[80:81]
	v_fmac_f64_e32 v[80:81], s[6:7], v[2:3]
	v_add_f64 v[2:3], v[48:49], v[64:65]
	ds_write_b64 v131, v[82:83] offset:432
	ds_write2_b64 v132, v[0:1], v[4:5] offset1:27
	v_add_f64 v[0:1], v[78:79], v[48:49]
	v_fmac_f64_e32 v[78:79], -0.5, v[2:3]
	v_lshrrev_b32_e32 v2, 16, v10
	v_lshlrev_b32_e32 v3, 3, v143
	v_add3_u32 v133, 0, v2, v3
	v_add_f64 v[2:3], v[62:63], -v[104:105]
	v_add_f64 v[0:1], v[0:1], v[64:65]
	v_fma_f64 v[4:5], s[2:3], v[2:3], v[78:79]
	v_fmac_f64_e32 v[78:79], s[6:7], v[2:3]
	v_add_f64 v[2:3], v[70:71], v[58:59]
	ds_write_b64 v132, v[80:81] offset:432
	ds_write2_b64 v133, v[0:1], v[4:5] offset1:27
	v_add_f64 v[0:1], v[76:77], v[70:71]
	v_fmac_f64_e32 v[76:77], -0.5, v[2:3]
	v_perm_b32 v2, v147, v146, s10
	v_pk_mul_lo_u16 v10, v2, s0 op_sel_hi:[1,0]
	v_lshlrev_b32_e32 v2, 3, v145
	v_and_b32_e32 v3, 0xfff8, v10
	v_add3_u32 v134, 0, v3, v2
	v_add_f64 v[2:3], v[108:109], -v[68:69]
	v_add_f64 v[0:1], v[0:1], v[58:59]
	v_fma_f64 v[4:5], s[2:3], v[2:3], v[76:77]
	v_fmac_f64_e32 v[76:77], s[6:7], v[2:3]
	v_add_f64 v[2:3], v[106:107], v[118:119]
	ds_write_b64 v133, v[78:79] offset:432
	ds_write2_b64 v134, v[0:1], v[4:5] offset1:27
	v_add_f64 v[0:1], v[74:75], v[106:107]
	v_fmac_f64_e32 v[74:75], -0.5, v[2:3]
	v_lshrrev_b32_e32 v2, 16, v10
	v_lshlrev_b32_e32 v3, 3, v159
	v_add3_u32 v135, 0, v2, v3
	v_add_f64 v[2:3], v[112:113], -v[122:123]
	v_add_f64 v[0:1], v[0:1], v[118:119]
	v_fma_f64 v[4:5], s[2:3], v[2:3], v[74:75]
	v_fmac_f64_e32 v[74:75], s[6:7], v[2:3]
	v_add_f64 v[2:3], v[110:111], v[116:117]
	ds_write_b64 v134, v[76:77] offset:432
	ds_write2_b64 v135, v[0:1], v[4:5] offset1:27
	v_add_f64 v[0:1], v[72:73], v[110:111]
	v_fmac_f64_e32 v[72:73], -0.5, v[2:3]
	v_mul_u32_u24_e32 v2, 0x288, v196
	v_lshlrev_b32_e32 v3, 3, v197
	v_add3_u32 v142, 0, v2, v3
	v_add_f64 v[2:3], v[114:115], -v[120:121]
	v_add_f64 v[0:1], v[0:1], v[116:117]
	v_fma_f64 v[4:5], s[2:3], v[2:3], v[72:73]
	ds_write_b64 v135, v[74:75] offset:432
	ds_write2_b64 v142, v[0:1], v[4:5] offset1:27
	v_add_f64 v[0:1], v[126:127], v[32:33]
	v_add_f64 v[74:75], v[0:1], v[6:7]
	;; [unrolled: 1-line block ×3, first 2 shown]
	v_fmac_f64_e32 v[126:127], -0.5, v[0:1]
	v_add_f64 v[76:77], v[124:125], -v[8:9]
	v_fmac_f64_e32 v[72:73], s[6:7], v[2:3]
	ds_write_b64 v142, v[72:73] offset:432
	v_fma_f64 v[72:73], s[6:7], v[76:77], v[126:127]
	s_waitcnt lgkmcnt(0)
	; wave barrier
	s_waitcnt lgkmcnt(0)
	ds_read_b64 v[88:89], v170
	ds_read_b64 v[86:87], v178
	;; [unrolled: 1-line block ×4, first 2 shown]
	ds_read2_b64 v[38:41], v172 offset0:55 offset1:118
	ds_read2_b64 v[6:9], v171 offset0:47 offset1:110
	ds_read2_b64 v[34:37], v171 offset0:173 offset1:236
	ds_read2_b64 v[30:33], v172 offset0:181 offset1:244
	ds_read2_b64 v[26:29], v174 offset0:43 offset1:106
	ds_read2_b64 v[22:25], v173 offset0:51 offset1:114
	ds_read2_b64 v[18:21], v174 offset0:169 offset1:232
	ds_read2_b64 v[14:17], v173 offset0:177 offset1:240
	ds_read_b64 v[82:83], v181
	ds_read_b64 v[0:1], v182
	;; [unrolled: 1-line block ×4, first 2 shown]
	ds_read2_b64 v[10:13], v187 offset0:39 offset1:102
	ds_read_b64 v[4:5], v185
	s_waitcnt lgkmcnt(0)
	; wave barrier
	s_waitcnt lgkmcnt(0)
	ds_write2_b64 v192, v[74:75], v[72:73] offset1:27
	v_add_f64 v[74:75], v[92:93], v[98:99]
	v_add_f64 v[72:73], v[148:149], v[92:93]
	v_fmac_f64_e32 v[148:149], -0.5, v[74:75]
	v_add_f64 v[74:75], v[90:91], -v[94:95]
	v_fmac_f64_e32 v[126:127], s[2:3], v[76:77]
	v_add_f64 v[72:73], v[72:73], v[98:99]
	v_fma_f64 v[76:77], s[6:7], v[74:75], v[148:149]
	ds_write_b64 v192, v[126:127] offset:432
	ds_write2_b64 v128, v[72:73], v[76:77] offset1:27
	v_add_f64 v[72:73], v[150:151], v[100:101]
	v_add_f64 v[72:73], v[72:73], v[50:51]
	;; [unrolled: 1-line block ×3, first 2 shown]
	v_fmac_f64_e32 v[150:151], -0.5, v[50:51]
	v_add_f64 v[42:43], v[96:97], -v[42:43]
	v_fmac_f64_e32 v[148:149], s[2:3], v[74:75]
	v_fma_f64 v[50:51], s[6:7], v[42:43], v[150:151]
	ds_write_b64 v128, v[148:149] offset:432
	ds_write2_b64 v129, v[72:73], v[50:51] offset1:27
	v_add_f64 v[50:51], v[52:53], v[102:103]
	v_fmac_f64_e32 v[150:151], s[2:3], v[42:43]
	v_add_f64 v[42:43], v[152:153], v[52:53]
	v_fmac_f64_e32 v[152:153], -0.5, v[50:51]
	v_add_f64 v[44:45], v[44:45], -v[60:61]
	v_add_f64 v[42:43], v[42:43], v[102:103]
	v_fma_f64 v[50:51], s[6:7], v[44:45], v[152:153]
	v_fmac_f64_e32 v[152:153], s[2:3], v[44:45]
	v_add_f64 v[44:45], v[66:67], v[54:55]
	ds_write_b64 v129, v[150:151] offset:432
	ds_write2_b64 v131, v[42:43], v[50:51] offset1:27
	v_add_f64 v[42:43], v[154:155], v[66:67]
	v_fmac_f64_e32 v[154:155], -0.5, v[44:45]
	v_add_f64 v[44:45], v[56:57], -v[46:47]
	v_add_f64 v[50:51], v[62:63], v[104:105]
	v_fma_f64 v[46:47], s[6:7], v[44:45], v[154:155]
	v_fmac_f64_e32 v[154:155], s[2:3], v[44:45]
	v_add_f64 v[44:45], v[156:157], v[62:63]
	v_fmac_f64_e32 v[156:157], -0.5, v[50:51]
	v_add_f64 v[48:49], v[48:49], -v[64:65]
	v_add_f64 v[52:53], v[108:109], v[68:69]
	v_fma_f64 v[50:51], s[6:7], v[48:49], v[156:157]
	v_fmac_f64_e32 v[156:157], s[2:3], v[48:49]
	v_add_f64 v[48:49], v[160:161], v[108:109]
	v_fmac_f64_e32 v[160:161], -0.5, v[52:53]
	v_add_f64 v[52:53], v[70:71], -v[58:59]
	v_add_f64 v[56:57], v[112:113], v[122:123]
	v_add_f64 v[42:43], v[42:43], v[54:55]
	v_fma_f64 v[54:55], s[6:7], v[52:53], v[160:161]
	v_fmac_f64_e32 v[160:161], s[2:3], v[52:53]
	v_add_f64 v[52:53], v[188:189], v[112:113]
	v_fmac_f64_e32 v[188:189], -0.5, v[56:57]
	v_add_f64 v[56:57], v[106:107], -v[118:119]
	v_add_f64 v[60:61], v[114:115], v[120:121]
	v_fma_f64 v[58:59], s[6:7], v[56:57], v[188:189]
	v_fmac_f64_e32 v[188:189], s[2:3], v[56:57]
	v_add_f64 v[56:57], v[190:191], v[114:115]
	v_fmac_f64_e32 v[190:191], -0.5, v[60:61]
	v_add_f64 v[60:61], v[110:111], -v[116:117]
	ds_write_b64 v131, v[152:153] offset:432
	v_add_f64 v[44:45], v[44:45], v[104:105]
	v_add_f64 v[48:49], v[48:49], v[68:69]
	;; [unrolled: 1-line block ×4, first 2 shown]
	v_fma_f64 v[62:63], s[6:7], v[60:61], v[190:191]
	v_fmac_f64_e32 v[190:191], s[2:3], v[60:61]
	ds_write2_b64 v132, v[42:43], v[46:47] offset1:27
	ds_write_b64 v132, v[154:155] offset:432
	ds_write2_b64 v133, v[44:45], v[50:51] offset1:27
	ds_write_b64 v133, v[156:157] offset:432
	ds_write2_b64 v134, v[48:49], v[54:55] offset1:27
	ds_write_b64 v134, v[160:161] offset:432
	ds_write2_b64 v135, v[52:53], v[58:59] offset1:27
	ds_write_b64 v135, v[188:189] offset:432
	ds_write2_b64 v142, v[56:57], v[62:63] offset1:27
	ds_write_b64 v142, v[190:191] offset:432
	v_lshlrev_b32_e32 v46, 1, v162
	v_mov_b32_e32 v47, 0
	v_lshl_add_u64 v[90:91], v[46:47], 4, s[4:5]
	v_subrev_u32_e32 v46, 18, v162
	v_cmp_gt_u32_e64 s[0:1], 18, v162
	s_waitcnt lgkmcnt(0)
	; wave barrier
	s_waitcnt lgkmcnt(0)
	v_cndmask_b32_e64 v92, v46, v166, s[0:1]
	global_load_dwordx4 v[42:45], v[90:91], off offset:1248
	v_lshlrev_b32_e32 v46, 1, v92
	v_lshl_add_u64 v[54:55], v[46:47], 4, s[4:5]
	global_load_dwordx4 v[50:53], v[54:55], off offset:1248
	global_load_dwordx4 v[46:49], v[54:55], off offset:1264
	s_movk_i32 s0, 0xcb
	v_mul_lo_u16_sdwa v54, v165, s0 dst_sel:DWORD dst_unused:UNUSED_PAD src0_sel:BYTE_0 src1_sel:DWORD
	v_lshrrev_b16_e32 v93, 14, v54
	v_mul_lo_u16_e32 v54, 0x51, v93
	v_sub_u16_e32 v94, v165, v54
	v_lshlrev_b32_sdwa v62, v158, v94 dst_sel:DWORD dst_unused:UNUSED_PAD src0_sel:DWORD src1_sel:BYTE_0
	global_load_dwordx4 v[54:57], v62, s[4:5] offset:1264
	global_load_dwordx4 v[58:61], v62, s[4:5] offset:1248
	v_mul_lo_u16_sdwa v62, v163, s0 dst_sel:DWORD dst_unused:UNUSED_PAD src0_sel:BYTE_0 src1_sel:DWORD
	v_lshrrev_b16_e32 v95, 14, v62
	v_mul_lo_u16_e32 v62, 0x51, v95
	v_sub_u16_e32 v131, v163, v62
	v_lshlrev_b32_sdwa v70, v158, v131 dst_sel:DWORD dst_unused:UNUSED_PAD src0_sel:DWORD src1_sel:BYTE_0
	global_load_dwordx4 v[62:65], v70, s[4:5] offset:1248
	global_load_dwordx4 v[66:69], v70, s[4:5] offset:1264
	s_movk_i32 s0, 0x6523
	v_mul_u32_u24_sdwa v70, v138, s0 dst_sel:DWORD dst_unused:UNUSED_PAD src0_sel:WORD_0 src1_sel:DWORD
	v_lshrrev_b32_e32 v70, 21, v70
	v_mul_lo_u16_e32 v70, 0x51, v70
	v_sub_u16_e32 v160, v138, v70
	v_lshlrev_b32_e32 v74, 5, v160
	v_mul_u32_u24_sdwa v96, v139, s0 dst_sel:DWORD dst_unused:UNUSED_PAD src0_sel:WORD_0 src1_sel:DWORD
	global_load_dwordx4 v[70:73], v74, s[4:5] offset:1264
	s_nop 0
	global_load_dwordx4 v[74:77], v74, s[4:5] offset:1248
	v_lshrrev_b32_e32 v161, 21, v96
	v_mul_lo_u16_e32 v96, 0x51, v161
	v_sub_u16_e32 v192, v139, v96
	v_lshlrev_b32_e32 v96, 5, v192
	global_load_dwordx4 v[100:103], v96, s[4:5] offset:1248
	global_load_dwordx4 v[118:121], v96, s[4:5] offset:1264
	v_mul_u32_u24_sdwa v96, v140, s0 dst_sel:DWORD dst_unused:UNUSED_PAD src0_sel:WORD_0 src1_sel:DWORD
	v_lshrrev_b32_e32 v193, 21, v96
	v_mul_lo_u16_e32 v96, 0x51, v193
	v_sub_u16_e32 v194, v140, v96
	v_lshlrev_b32_e32 v96, 5, v194
	global_load_dwordx4 v[126:129], v96, s[4:5] offset:1264
	global_load_dwordx4 v[132:135], v96, s[4:5] offset:1248
	v_mul_u32_u24_sdwa v96, v141, s0 dst_sel:DWORD dst_unused:UNUSED_PAD src0_sel:WORD_0 src1_sel:DWORD
	v_lshrrev_b32_e32 v195, 21, v96
	v_mul_lo_u16_e32 v96, 0x51, v195
	v_sub_u16_e32 v196, v141, v96
	v_lshlrev_b32_e32 v96, 5, v196
	global_load_dwordx4 v[138:141], v96, s[4:5] offset:1248
	global_load_dwordx4 v[142:145], v[90:91], off offset:1264
	v_mul_u32_u24_sdwa v90, v167, s0 dst_sel:DWORD dst_unused:UNUSED_PAD src0_sel:WORD_0 src1_sel:DWORD
	v_lshrrev_b32_e32 v90, 21, v90
	v_mul_lo_u16_e32 v90, 0x51, v90
	v_sub_u16_e32 v167, v167, v90
	v_lshlrev_b32_e32 v90, 5, v167
	global_load_dwordx4 v[146:149], v90, s[4:5] offset:1248
	global_load_dwordx4 v[150:153], v96, s[4:5] offset:1264
	;; [unrolled: 1-line block ×3, first 2 shown]
	ds_read2_b64 v[96:99], v172 offset0:55 offset1:118
	ds_read2_b64 v[112:115], v171 offset0:173 offset1:236
	v_cmp_lt_u32_e64 s[0:1], 17, v162
	s_waitcnt vmcnt(17) lgkmcnt(1)
	v_mul_f64 v[90:91], v[96:97], v[44:45]
	v_fma_f64 v[108:109], v[38:39], v[42:43], -v[90:91]
	v_mul_f64 v[122:123], v[38:39], v[44:45]
	s_waitcnt vmcnt(16)
	v_mul_f64 v[38:39], v[98:99], v[52:53]
	v_fmac_f64_e32 v[122:123], v[96:97], v[42:43]
	v_fma_f64 v[90:91], v[40:41], v[50:51], -v[38:39]
	v_mul_f64 v[96:97], v[40:41], v[52:53]
	s_waitcnt vmcnt(15) lgkmcnt(0)
	v_mul_f64 v[38:39], v[112:113], v[48:49]
	v_fmac_f64_e32 v[96:97], v[98:99], v[50:51]
	v_fma_f64 v[98:99], v[34:35], v[46:47], -v[38:39]
	ds_read2_b64 v[38:41], v172 offset0:181 offset1:244
	v_mul_f64 v[110:111], v[34:35], v[48:49]
	s_waitcnt vmcnt(14)
	v_mul_f64 v[34:35], v[114:115], v[56:57]
	v_fma_f64 v[52:53], v[36:37], v[54:55], -v[34:35]
	v_mul_f64 v[106:107], v[36:37], v[56:57]
	s_waitcnt vmcnt(13) lgkmcnt(0)
	v_mul_f64 v[34:35], v[38:39], v[60:61]
	v_fma_f64 v[104:105], v[30:31], v[58:59], -v[34:35]
	ds_read2_b64 v[34:37], v174 offset0:43 offset1:106
	v_fmac_f64_e32 v[106:107], v[114:115], v[54:55]
	v_mul_f64 v[114:115], v[30:31], v[60:61]
	s_waitcnt vmcnt(12)
	v_mul_f64 v[30:31], v[40:41], v[64:65]
	v_fma_f64 v[54:55], v[32:33], v[62:63], -v[30:31]
	s_waitcnt vmcnt(11) lgkmcnt(0)
	v_mul_f64 v[30:31], v[34:35], v[68:69]
	v_fmac_f64_e32 v[114:115], v[38:39], v[58:59]
	v_mul_f64 v[58:59], v[32:33], v[64:65]
	v_fma_f64 v[60:61], v[26:27], v[66:67], -v[30:31]
	ds_read2_b64 v[30:33], v173 offset0:51 offset1:114
	v_mul_f64 v[116:117], v[26:27], v[68:69]
	s_waitcnt vmcnt(10)
	v_mul_f64 v[26:27], v[36:37], v[72:73]
	v_fma_f64 v[56:57], v[28:29], v[70:71], -v[26:27]
	v_fmac_f64_e32 v[58:59], v[40:41], v[62:63]
	s_waitcnt vmcnt(9) lgkmcnt(0)
	v_mul_f64 v[26:27], v[30:31], v[76:77]
	v_mul_f64 v[64:65], v[28:29], v[72:73]
	v_fma_f64 v[62:63], v[22:23], v[74:75], -v[26:27]
	ds_read2_b64 v[26:29], v174 offset0:169 offset1:232
	v_mul_f64 v[76:77], v[22:23], v[76:77]
	s_waitcnt vmcnt(8)
	v_mul_f64 v[22:23], v[32:33], v[102:103]
	v_fmac_f64_e32 v[64:65], v[36:37], v[70:71]
	v_fma_f64 v[22:23], v[24:25], v[100:101], -v[22:23]
	v_mul_f64 v[70:71], v[24:25], v[102:103]
	s_waitcnt vmcnt(7) lgkmcnt(0)
	v_mul_f64 v[24:25], v[26:27], v[120:121]
	v_mul_f64 v[124:125], v[18:19], v[120:121]
	v_fma_f64 v[72:73], v[18:19], v[118:119], -v[24:25]
	v_fmac_f64_e32 v[124:125], v[26:27], v[118:119]
	ds_read2_b64 v[24:27], v173 offset0:177 offset1:240
	v_fmac_f64_e32 v[76:77], v[30:31], v[74:75]
	s_waitcnt vmcnt(6)
	v_mul_f64 v[74:75], v[20:21], v[128:129]
	v_mul_f64 v[18:19], v[28:29], v[128:129]
	v_fmac_f64_e32 v[74:75], v[28:29], v[126:127]
	ds_read2_b64 v[28:31], v171 offset0:47 offset1:110
	v_fmac_f64_e32 v[116:117], v[34:35], v[66:67]
	v_fma_f64 v[66:67], v[20:21], v[126:127], -v[18:19]
	s_waitcnt vmcnt(5) lgkmcnt(1)
	v_mul_f64 v[18:19], v[24:25], v[134:135]
	v_fma_f64 v[20:21], v[14:15], v[132:133], -v[18:19]
	v_mul_f64 v[126:127], v[14:15], v[134:135]
	s_waitcnt vmcnt(4)
	v_mul_f64 v[14:15], v[26:27], v[140:141]
	v_fma_f64 v[14:15], v[16:17], v[138:139], -v[14:15]
	v_mul_f64 v[118:119], v[16:17], v[140:141]
	s_waitcnt vmcnt(3) lgkmcnt(0)
	v_mul_f64 v[16:17], v[30:31], v[144:145]
	v_fmac_f64_e32 v[126:127], v[24:25], v[132:133]
	v_fma_f64 v[132:133], v[8:9], v[142:143], -v[16:17]
	ds_read2_b64 v[16:19], v187 offset0:39 offset1:102
	v_mul_f64 v[158:159], v[8:9], v[144:145]
	s_waitcnt vmcnt(2)
	v_mul_f64 v[8:9], v[28:29], v[148:149]
	v_fma_f64 v[68:69], v[6:7], v[146:147], -v[8:9]
	v_mul_f64 v[120:121], v[6:7], v[148:149]
	s_waitcnt vmcnt(1) lgkmcnt(0)
	v_mul_f64 v[6:7], v[16:17], v[152:153]
	v_fmac_f64_e32 v[158:159], v[30:31], v[142:143]
	v_fma_f64 v[8:9], v[10:11], v[150:151], -v[6:7]
	v_mul_f64 v[156:157], v[10:11], v[152:153]
	s_waitcnt vmcnt(0)
	v_mul_f64 v[6:7], v[18:19], v[190:191]
	v_add_f64 v[10:11], v[108:109], v[132:133]
	v_fmac_f64_e32 v[156:157], v[16:17], v[150:151]
	v_fma_f64 v[128:129], v[12:13], v[188:189], -v[6:7]
	v_mul_f64 v[148:149], v[12:13], v[190:191]
	v_add_f64 v[6:7], v[88:89], v[108:109]
	v_fmac_f64_e32 v[88:89], -0.5, v[10:11]
	v_add_f64 v[16:17], v[122:123], -v[158:159]
	v_fmac_f64_e32 v[148:149], v[18:19], v[188:189]
	v_add_f64 v[6:7], v[6:7], v[132:133]
	v_fma_f64 v[18:19], s[2:3], v[16:17], v[88:89]
	v_fmac_f64_e32 v[88:89], s[6:7], v[16:17]
	v_add_f64 v[16:17], v[90:91], v[98:99]
	v_fmac_f64_e32 v[120:121], v[28:29], v[146:147]
	ds_read_b64 v[154:155], v170
	ds_read_b64 v[150:151], v178
	;; [unrolled: 1-line block ×9, first 2 shown]
	s_waitcnt lgkmcnt(0)
	; wave barrier
	s_waitcnt lgkmcnt(0)
	ds_write2_b64 v170, v[6:7], v[18:19] offset1:81
	v_add_f64 v[6:7], v[86:87], v[90:91]
	v_fmac_f64_e32 v[86:87], -0.5, v[16:17]
	v_mov_b32_e32 v16, 0x798
	v_fmac_f64_e32 v[110:111], v[112:113], v[46:47]
	v_cndmask_b32_e64 v16, 0, v16, s[0:1]
	v_lshlrev_b32_e32 v17, 3, v92
	ds_write_b64 v170, v[88:89] offset:1296
	v_add3_u32 v88, 0, v16, v17
	v_add_f64 v[16:17], v[96:97], -v[110:111]
	v_add_f64 v[6:7], v[6:7], v[98:99]
	v_fma_f64 v[18:19], s[2:3], v[16:17], v[86:87]
	v_fmac_f64_e32 v[86:87], s[6:7], v[16:17]
	v_add_f64 v[16:17], v[104:105], v[52:53]
	ds_write2_b64 v88, v[6:7], v[18:19] offset1:81
	v_add_f64 v[6:7], v[84:85], v[104:105]
	v_fmac_f64_e32 v[84:85], -0.5, v[16:17]
	v_mul_u32_u24_e32 v16, 0x798, v93
	v_lshlrev_b32_sdwa v17, v130, v94 dst_sel:DWORD dst_unused:UNUSED_PAD src0_sel:DWORD src1_sel:BYTE_0
	ds_write_b64 v88, v[86:87] offset:1296
	v_add3_u32 v86, 0, v16, v17
	v_add_f64 v[16:17], v[114:115], -v[106:107]
	v_add_f64 v[6:7], v[6:7], v[52:53]
	v_fma_f64 v[18:19], s[2:3], v[16:17], v[84:85]
	v_fmac_f64_e32 v[84:85], s[6:7], v[16:17]
	v_add_f64 v[16:17], v[54:55], v[60:61]
	ds_write2_b64 v86, v[6:7], v[18:19] offset1:81
	v_add_f64 v[6:7], v[80:81], v[54:55]
	v_fmac_f64_e32 v[80:81], -0.5, v[16:17]
	v_lshlrev_b32_sdwa v16, v130, v131 dst_sel:DWORD dst_unused:UNUSED_PAD src0_sel:DWORD src1_sel:BYTE_0
	v_mul_u32_u24_e32 v17, 0x798, v95
	ds_write_b64 v86, v[84:85] offset:1296
	v_add3_u32 v84, 0, v17, v16
	v_add_f64 v[16:17], v[58:59], -v[116:117]
	v_add_f64 v[6:7], v[6:7], v[60:61]
	v_fma_f64 v[18:19], s[2:3], v[16:17], v[80:81]
	v_fmac_f64_e32 v[80:81], s[6:7], v[16:17]
	v_add_f64 v[16:17], v[62:63], v[56:57]
	ds_write2_b64 v84, v[6:7], v[18:19] offset1:81
	v_add_f64 v[6:7], v[82:83], v[62:63]
	v_fmac_f64_e32 v[82:83], -0.5, v[16:17]
	ds_write_b64 v84, v[80:81] offset:1296
	v_lshl_add_u32 v80, v160, 3, 0
	v_add_f64 v[16:17], v[76:77], -v[64:65]
	v_add_f64 v[6:7], v[6:7], v[56:57]
	v_add_u32_e32 v81, 0x1400, v80
	v_fma_f64 v[18:19], s[2:3], v[16:17], v[82:83]
	v_fmac_f64_e32 v[82:83], s[6:7], v[16:17]
	v_add_f64 v[16:17], v[22:23], v[72:73]
	v_fmac_f64_e32 v[70:71], v[32:33], v[100:101]
	ds_write2_b64 v81, v[6:7], v[18:19] offset0:89 offset1:170
	v_add_f64 v[6:7], v[0:1], v[22:23]
	v_fmac_f64_e32 v[0:1], -0.5, v[16:17]
	v_mul_u32_u24_e32 v16, 0x798, v161
	v_lshlrev_b32_e32 v17, 3, v192
	ds_write_b64 v80, v[82:83] offset:7128
	v_add3_u32 v82, 0, v16, v17
	v_add_f64 v[16:17], v[70:71], -v[124:125]
	v_fma_f64 v[18:19], s[2:3], v[16:17], v[0:1]
	v_fmac_f64_e32 v[0:1], s[6:7], v[16:17]
	ds_write_b64 v82, v[0:1] offset:1296
	v_perm_b32 v0, v195, v193, s10
	s_movk_i32 s0, 0x798
	v_fmac_f64_e32 v[118:119], v[26:27], v[138:139]
	v_add_f64 v[6:7], v[6:7], v[72:73]
	v_pk_mul_lo_u16 v26, v0, s0 op_sel_hi:[1,0]
	ds_write2_b64 v82, v[6:7], v[18:19] offset1:81
	v_add_f64 v[6:7], v[78:79], v[20:21]
	v_add_f64 v[16:17], v[20:21], v[66:67]
	v_lshlrev_b32_e32 v0, 3, v194
	v_and_b32_e32 v1, 0xfff8, v26
	v_fmac_f64_e32 v[78:79], -0.5, v[16:17]
	v_add3_u32 v83, 0, v1, v0
	v_add_f64 v[0:1], v[6:7], v[66:67]
	v_add_f64 v[6:7], v[126:127], -v[74:75]
	v_fma_f64 v[16:17], s[2:3], v[6:7], v[78:79]
	ds_write2_b64 v83, v[0:1], v[16:17] offset1:81
	v_add_f64 v[0:1], v[14:15], v[8:9]
	v_fmac_f64_e32 v[78:79], s[6:7], v[6:7]
	v_add_f64 v[6:7], v[2:3], v[14:15]
	v_fmac_f64_e32 v[2:3], -0.5, v[0:1]
	v_add_f64 v[16:17], v[118:119], -v[156:157]
	v_add_f64 v[18:19], v[68:69], v[128:129]
	v_fma_f64 v[0:1], s[2:3], v[16:17], v[2:3]
	v_fmac_f64_e32 v[2:3], s[6:7], v[16:17]
	v_add_f64 v[16:17], v[4:5], v[68:69]
	v_fmac_f64_e32 v[4:5], -0.5, v[18:19]
	v_add_f64 v[24:25], v[120:121], -v[148:149]
	v_fma_f64 v[18:19], s[2:3], v[24:25], v[4:5]
	v_fmac_f64_e32 v[4:5], s[6:7], v[24:25]
	v_lshrrev_b32_e32 v24, 16, v26
	v_lshlrev_b32_e32 v25, 3, v196
	v_lshl_add_u32 v89, v167, 3, 0
	v_add_f64 v[16:17], v[16:17], v[128:129]
	ds_write_b64 v83, v[78:79] offset:1296
	v_add3_u32 v78, 0, v24, v25
	v_add_f64 v[130:131], v[6:7], v[8:9]
	v_add_u32_e32 v160, 0x2c00, v89
	ds_write2_b64 v78, v[130:131], v[0:1] offset1:81
	ds_write_b64 v78, v[2:3] offset:1296
	ds_write2_b64 v160, v[16:17], v[18:19] offset0:50 offset1:131
	ds_write_b64 v89, v[4:5] offset:12960
	s_waitcnt lgkmcnt(0)
	; wave barrier
	s_waitcnt lgkmcnt(0)
	v_add_u32_e32 v167, 0xc00, v170
	v_add_u32_e32 v161, 0x1c00, v170
	v_add_u32_e32 v87, 0x800, v170
	v_add_u32_e32 v85, 0x2400, v170
	ds_read_b64 v[112:113], v179
	ds_read_b64 v[138:139], v178
	ds_read_b64 v[142:143], v170 offset:12672
	ds_read2_b64 v[24:27], v170 offset1:243
	ds_read2_b64 v[36:39], v167 offset0:102 offset1:165
	ds_read2_b64 v[32:35], v172 offset0:100 offset1:217
	;; [unrolled: 1-line block ×8, first 2 shown]
	v_sub_u32_e32 v79, 0, v180
	v_add_u32_e32 v79, v175, v79
	v_sub_u32_e32 v175, 0, v177
	v_cmp_gt_u32_e64 s[0:1], 54, v162
	s_and_saveexec_b64 s[10:11], s[0:1]
	s_cbranch_execz .LBB0_15
; %bb.14:
	v_add_u32_e32 v4, 0x1c80, v170
	v_add_u32_e32 v0, 0xd80, v170
	ds_read2_b64 v[16:19], v4 offset0:6 offset1:249
	v_add_u32_e32 v4, 0x2b80, v170
	ds_read_b64 v[130:131], v79
	ds_read2_b64 v[0:3], v0 offset1:243
	ds_read2_b64 v[4:7], v4 offset0:12 offset1:255
.LBB0_15:
	s_or_b64 exec, exec, s[10:11]
	v_add_f64 v[178:179], v[154:155], v[122:123]
	v_add_f64 v[122:123], v[122:123], v[158:159]
	v_fmac_f64_e32 v[154:155], -0.5, v[122:123]
	v_add_f64 v[108:109], v[108:109], -v[132:133]
	v_fma_f64 v[122:123], s[6:7], v[108:109], v[154:155]
	v_fmac_f64_e32 v[154:155], s[2:3], v[108:109]
	v_add_f64 v[108:109], v[150:151], v[96:97]
	v_add_f64 v[96:97], v[96:97], v[110:111]
	v_fmac_f64_e32 v[150:151], -0.5, v[96:97]
	v_add_f64 v[90:91], v[90:91], -v[98:99]
	v_add_f64 v[98:99], v[114:115], v[106:107]
	v_fma_f64 v[96:97], s[6:7], v[90:91], v[150:151]
	v_fmac_f64_e32 v[150:151], s[2:3], v[90:91]
	v_add_f64 v[90:91], v[152:153], v[114:115]
	v_fmac_f64_e32 v[152:153], -0.5, v[98:99]
	v_add_f64 v[52:53], v[104:105], -v[52:53]
	v_fma_f64 v[98:99], s[6:7], v[52:53], v[152:153]
	v_fmac_f64_e32 v[152:153], s[2:3], v[52:53]
	v_add_f64 v[52:53], v[144:145], v[58:59]
	v_add_f64 v[58:59], v[58:59], v[116:117]
	v_fmac_f64_e32 v[144:145], -0.5, v[58:59]
	v_add_f64 v[54:55], v[54:55], -v[60:61]
	v_add_f64 v[60:61], v[76:77], v[64:65]
	v_fma_f64 v[58:59], s[6:7], v[54:55], v[144:145]
	v_fmac_f64_e32 v[144:145], s[2:3], v[54:55]
	v_add_f64 v[54:55], v[146:147], v[76:77]
	v_fmac_f64_e32 v[146:147], -0.5, v[60:61]
	v_add_f64 v[56:57], v[62:63], -v[56:57]
	v_add_f64 v[62:63], v[70:71], v[124:125]
	v_fma_f64 v[60:61], s[6:7], v[56:57], v[146:147]
	v_fmac_f64_e32 v[146:147], s[2:3], v[56:57]
	v_add_f64 v[56:57], v[140:141], v[70:71]
	v_fmac_f64_e32 v[140:141], -0.5, v[62:63]
	v_add_f64 v[22:23], v[22:23], -v[72:73]
	v_fma_f64 v[62:63], s[6:7], v[22:23], v[140:141]
	v_fmac_f64_e32 v[140:141], s[2:3], v[22:23]
	v_add_f64 v[22:23], v[134:135], v[126:127]
	v_add_f64 v[54:55], v[54:55], v[64:65]
	;; [unrolled: 1-line block ×4, first 2 shown]
	v_fmac_f64_e32 v[134:135], -0.5, v[22:23]
	v_add_f64 v[20:21], v[20:21], -v[66:67]
	v_fma_f64 v[66:67], s[6:7], v[20:21], v[134:135]
	v_fmac_f64_e32 v[134:135], s[2:3], v[20:21]
	v_add_f64 v[20:21], v[10:11], v[118:119]
	v_add_f64 v[132:133], v[20:21], v[156:157]
	;; [unrolled: 1-line block ×3, first 2 shown]
	v_fmac_f64_e32 v[10:11], -0.5, v[20:21]
	v_add_f64 v[14:15], v[14:15], -v[8:9]
	v_fma_f64 v[8:9], s[6:7], v[14:15], v[10:11]
	v_fmac_f64_e32 v[10:11], s[2:3], v[14:15]
	v_add_f64 v[14:15], v[12:13], v[120:121]
	v_add_f64 v[20:21], v[14:15], v[148:149]
	;; [unrolled: 1-line block ×6, first 2 shown]
	v_fmac_f64_e32 v[12:13], -0.5, v[14:15]
	v_add_f64 v[14:15], v[68:69], -v[128:129]
	v_add_f64 v[108:109], v[108:109], v[110:111]
	v_add_f64 v[90:91], v[90:91], v[106:107]
	v_fma_f64 v[22:23], s[6:7], v[14:15], v[12:13]
	v_fmac_f64_e32 v[12:13], s[2:3], v[14:15]
	s_waitcnt lgkmcnt(0)
	; wave barrier
	s_waitcnt lgkmcnt(0)
	ds_write2_b64 v170, v[178:179], v[122:123] offset1:81
	ds_write_b64 v170, v[154:155] offset:1296
	ds_write2_b64 v88, v[108:109], v[96:97] offset1:81
	ds_write_b64 v88, v[150:151] offset:1296
	;; [unrolled: 2-line block ×4, first 2 shown]
	ds_write2_b64 v81, v[54:55], v[60:61] offset0:89 offset1:170
	ds_write_b64 v80, v[146:147] offset:7128
	ds_write2_b64 v82, v[56:57], v[62:63] offset1:81
	ds_write_b64 v82, v[140:141] offset:1296
	ds_write2_b64 v83, v[64:65], v[66:67] offset1:81
	;; [unrolled: 2-line block ×3, first 2 shown]
	ds_write_b64 v78, v[10:11] offset:1296
	ds_write2_b64 v160, v[20:21], v[22:23] offset0:50 offset1:131
	ds_write_b64 v89, v[12:13] offset:12960
	s_waitcnt lgkmcnt(0)
	; wave barrier
	s_waitcnt lgkmcnt(0)
	ds_read2_b64 v[52:55], v170 offset1:243
	ds_read2_b64 v[64:67], v167 offset0:102 offset1:165
	ds_read2_b64 v[60:63], v172 offset0:100 offset1:217
	;; [unrolled: 1-line block ×5, first 2 shown]
	v_add_u32_e32 v15, v169, v175
	v_add_u32_e32 v14, v168, v176
	ds_read2_b64 v[118:121], v87 offset0:50 offset1:113
	ds_read2_b64 v[96:99], v173 offset0:24 offset1:87
	;; [unrolled: 1-line block ×3, first 2 shown]
	ds_read_b64 v[144:145], v15
	ds_read_b64 v[140:141], v14
	ds_read_b64 v[146:147], v170 offset:12672
	s_and_saveexec_b64 s[2:3], s[0:1]
	s_cbranch_execz .LBB0_17
; %bb.16:
	v_add_u32_e32 v12, 0x1c80, v170
	v_add_u32_e32 v8, 0xd80, v170
	ds_read2_b64 v[20:23], v12 offset0:6 offset1:249
	v_add_u32_e32 v12, 0x2b80, v170
	ds_read_b64 v[132:133], v79
	ds_read2_b64 v[8:11], v8 offset1:243
	ds_read2_b64 v[12:15], v12 offset0:12 offset1:255
.LBB0_17:
	s_or_b64 exec, exec, s[2:3]
	s_and_saveexec_b64 s[2:3], vcc
	s_cbranch_execz .LBB0_20
; %bb.18:
	v_mul_i32_i24_e32 v134, 6, v165
	v_mov_b32_e32 v135, 0
	v_lshl_add_u64 v[108:109], v[134:135], 4, s[4:5]
	global_load_dwordx4 v[76:79], v[108:109], off offset:3840
	global_load_dwordx4 v[104:107], v[108:109], off offset:3920
	;; [unrolled: 1-line block ×5, first 2 shown]
	s_nop 0
	global_load_dwordx4 v[108:111], v[108:109], off offset:3904
	v_mul_i32_i24_e32 v134, 6, v166
	v_lshl_add_u64 v[160:161], v[134:135], 4, s[4:5]
	global_load_dwordx4 v[122:125], v[160:161], off offset:3888
	global_load_dwordx4 v[126:129], v[160:161], off offset:3872
	global_load_dwordx4 v[148:151], v[160:161], off offset:3856
	global_load_dwordx4 v[152:155], v[160:161], off offset:3840
	global_load_dwordx4 v[156:159], v[160:161], off offset:3920
	global_load_dwordx4 v[166:169], v[160:161], off offset:3904
	s_mov_b32 s14, 0x36b3c0b5
	s_mov_b32 s10, 0xe976ee23
	;; [unrolled: 1-line block ×20, first 2 shown]
	s_movk_i32 s28, 0x5b2
	s_waitcnt vmcnt(11)
	v_mul_f64 v[180:181], v[102:103], v[78:79]
	s_waitcnt vmcnt(10) lgkmcnt(0)
	v_mul_f64 v[170:171], v[146:147], v[106:107]
	v_mul_f64 v[106:107], v[142:143], v[106:107]
	s_waitcnt vmcnt(9)
	v_mul_f64 v[172:173], v[68:69], v[82:83]
	s_waitcnt vmcnt(7)
	;; [unrolled: 2-line block ×3, first 2 shown]
	v_mul_f64 v[178:179], v[116:117], v[110:111]
	v_mul_f64 v[110:111], v[94:95], v[110:111]
	;; [unrolled: 1-line block ×6, first 2 shown]
	v_fmac_f64_e32 v[106:107], v[146:147], v[104:105]
	v_fmac_f64_e32 v[180:181], v[120:121], v[76:77]
	;; [unrolled: 1-line block ×4, first 2 shown]
	v_mul_f64 v[160:161], v[120:121], v[78:79]
	v_fma_f64 v[40:41], v[40:41], v[80:81], -v[172:173]
	v_fma_f64 v[50:51], v[50:51], v[84:85], -v[174:175]
	;; [unrolled: 1-line block ×4, first 2 shown]
	v_fmac_f64_e32 v[182:183], v[98:99], v[84:85]
	v_fmac_f64_e32 v[82:83], v[68:69], v[80:81]
	v_add_f64 v[88:89], v[180:181], v[106:107]
	v_add_f64 v[98:99], v[90:91], v[110:111]
	v_fma_f64 v[78:79], v[102:103], v[76:77], -v[160:161]
	v_fma_f64 v[86:87], v[142:143], v[104:105], -v[170:171]
	v_add_f64 v[68:69], v[40:41], -v[50:51]
	v_add_f64 v[80:81], v[32:33], -v[94:95]
	v_add_f64 v[76:77], v[82:83], v[182:183]
	v_add_f64 v[32:33], v[32:33], v[94:95]
	;; [unrolled: 1-line block ×4, first 2 shown]
	v_add_f64 v[60:61], v[78:79], -v[86:87]
	v_add_f64 v[102:103], v[78:79], v[86:87]
	v_add_f64 v[94:95], v[88:89], -v[76:77]
	v_add_f64 v[86:87], v[76:77], -v[98:99]
	v_add_f64 v[116:117], v[40:41], -v[32:33]
	v_add_f64 v[76:77], v[76:77], v[84:85]
	v_add_f64 v[78:79], v[68:69], -v[80:81]
	v_add_f64 v[104:105], v[102:103], v[32:33]
	v_add_f64 v[108:109], v[102:103], -v[40:41]
	v_mul_f64 v[146:147], v[86:87], s[14:15]
	v_mul_f64 v[116:117], v[116:117], s[14:15]
	v_add_f64 v[86:87], v[144:145], v[76:77]
	v_add_f64 v[50:51], v[60:61], -v[68:69]
	v_add_f64 v[68:69], v[68:69], v[80:81]
	v_mul_f64 v[120:121], v[78:79], s[10:11]
	v_mul_f64 v[142:143], v[94:95], s[16:17]
	v_add_f64 v[40:41], v[40:41], v[104:105]
	v_mul_f64 v[104:105], v[108:109], s[16:17]
	v_fma_f64 v[78:79], s[16:17], v[94:95], v[146:147]
	v_fma_f64 v[94:95], s[16:17], v[108:109], v[116:117]
	v_mov_b64_e32 v[108:109], v[86:87]
	v_add_f64 v[68:69], v[60:61], v[68:69]
	v_fmac_f64_e32 v[108:109], s[12:13], v[76:77]
	v_add_f64 v[76:77], v[82:83], -v[182:183]
	v_add_f64 v[90:91], v[90:91], -v[110:111]
	;; [unrolled: 1-line block ×3, first 2 shown]
	v_add_f64 v[84:85], v[112:113], v[40:41]
	v_add_f64 v[106:107], v[180:181], -v[106:107]
	v_add_f64 v[82:83], v[76:77], -v[90:91]
	v_mul_f64 v[80:81], v[60:61], s[20:21]
	v_add_f64 v[88:89], v[98:99], -v[88:89]
	v_fma_f64 v[160:161], s[6:7], v[50:51], v[120:121]
	v_mov_b64_e32 v[112:113], v[84:85]
	v_add_f64 v[144:145], v[106:107], -v[76:77]
	v_mul_f64 v[110:111], v[82:83], s[10:11]
	v_add_f64 v[76:77], v[76:77], v[90:91]
	v_fma_f64 v[50:51], v[50:51], s[18:19], -v[80:81]
	v_fma_f64 v[80:81], v[88:89], s[22:23], -v[142:143]
	v_add_f64 v[32:33], v[32:33], -v[102:103]
	v_add_f64 v[102:103], v[90:91], -v[106:107]
	v_fma_f64 v[60:61], v[60:61], s[20:21], -v[120:121]
	v_fmac_f64_e32 v[160:161], s[2:3], v[68:69]
	v_fmac_f64_e32 v[112:113], s[12:13], v[40:41]
	v_add_f64 v[172:173], v[106:107], v[76:77]
	v_fmac_f64_e32 v[50:51], s[2:3], v[68:69]
	v_add_f64 v[98:99], v[80:81], v[108:109]
	v_fma_f64 v[80:81], v[32:33], s[22:23], -v[104:105]
	v_fmac_f64_e32 v[60:61], s[2:3], v[68:69]
	v_fma_f64 v[32:33], v[32:33], s[24:25], -v[116:117]
	v_fma_f64 v[68:69], v[102:103], s[20:21], -v[110:111]
	;; [unrolled: 1-line block ×3, first 2 shown]
	v_add_f64 v[32:33], v[32:33], v[112:113]
	v_fmac_f64_e32 v[68:69], s[2:3], v[172:173]
	v_add_f64 v[40:41], v[78:79], v[108:109]
	v_add_f64 v[142:143], v[80:81], v[112:113]
	v_mul_f64 v[80:81], v[102:103], s[20:21]
	v_add_f64 v[104:105], v[88:89], v[108:109]
	v_add_f64 v[88:89], v[68:69], v[32:33]
	v_add_f64 v[102:103], v[32:33], -v[68:69]
	s_waitcnt vmcnt(2)
	v_mul_f64 v[32:33], v[118:119], v[154:155]
	v_add_f64 v[94:95], v[94:95], v[112:113]
	v_add_f64 v[78:79], v[160:161], v[40:41]
	v_add_f64 v[112:113], v[40:41], -v[160:161]
	v_fma_f64 v[40:41], v[100:101], v[152:153], -v[32:33]
	s_waitcnt vmcnt(1)
	v_mul_f64 v[32:33], v[74:75], v[158:159]
	v_fma_f64 v[170:171], s[6:7], v[144:145], v[110:111]
	v_add_f64 v[82:83], v[50:51], v[98:99]
	v_add_f64 v[108:109], v[98:99], -v[50:51]
	v_fma_f64 v[50:51], v[46:47], v[156:157], -v[32:33]
	v_mul_f64 v[32:33], v[58:59], v[124:125]
	v_mul_f64 v[116:117], v[66:67], v[150:151]
	v_fmac_f64_e32 v[170:171], s[2:3], v[172:173]
	v_fma_f64 v[68:69], v[30:31], v[122:123], -v[32:33]
	v_mul_f64 v[32:33], v[96:97], v[128:129]
	v_fma_f64 v[160:161], v[38:39], v[148:149], -v[116:117]
	s_waitcnt vmcnt(0)
	v_mul_f64 v[116:117], v[114:115], v[168:169]
	v_add_f64 v[76:77], v[94:95], -v[170:171]
	v_fma_f64 v[106:107], v[144:145], s[18:19], -v[80:81]
	v_add_f64 v[110:111], v[170:171], v[94:95]
	v_fma_f64 v[94:95], v[48:49], v[126:127], -v[32:33]
	v_fma_f64 v[170:171], v[92:93], v[166:167], -v[116:117]
	v_fmac_f64_e32 v[106:107], s[2:3], v[172:173]
	v_add_f64 v[90:91], v[104:105], -v[60:61]
	v_add_f64 v[104:105], v[60:61], v[104:105]
	v_add_f64 v[60:61], v[40:41], -v[50:51]
	v_add_f64 v[32:33], v[68:69], -v[94:95]
	;; [unrolled: 1-line block ×5, first 2 shown]
	v_add_f64 v[32:33], v[32:33], v[172:173]
	v_add_f64 v[178:179], v[60:61], v[32:33]
	v_mul_f64 v[158:159], v[46:47], v[158:159]
	v_mul_u32_u24_e32 v32, 6, v162
	v_fmac_f64_e32 v[158:159], v[74:75], v[156:157]
	v_mul_f64 v[74:75], v[100:101], v[154:155]
	v_mul_f64 v[92:93], v[92:93], v[168:169]
	v_lshlrev_b32_e32 v134, 4, v32
	v_mul_f64 v[30:31], v[30:31], v[124:125]
	v_add_f64 v[80:81], v[142:143], -v[106:107]
	v_add_f64 v[106:107], v[106:107], v[142:143]
	v_mul_f64 v[174:175], v[116:117], s[10:11]
	v_fmac_f64_e32 v[74:75], v[118:119], v[152:153]
	v_fmac_f64_e32 v[92:93], v[114:115], v[166:167]
	global_load_dwordx4 v[114:117], v134, s[4:5] offset:3856
	global_load_dwordx4 v[118:121], v134, s[4:5] offset:3840
	global_load_dwordx4 v[142:145], v134, s[4:5] offset:3920
	v_fmac_f64_e32 v[30:31], v[58:59], v[122:123]
	global_load_dwordx4 v[122:125], v134, s[4:5] offset:3904
	v_mul_f64 v[38:39], v[38:39], v[150:151]
	v_mul_f64 v[150:151], v[48:49], v[128:129]
	v_fmac_f64_e32 v[38:39], v[66:67], v[148:149]
	global_load_dwordx4 v[146:149], v134, s[4:5] offset:3888
	v_fmac_f64_e32 v[150:151], v[96:97], v[126:127]
	global_load_dwordx4 v[126:129], v134, s[4:5] offset:3872
	v_add_f64 v[100:101], v[74:75], v[158:159]
	v_add_f64 v[66:67], v[38:39], v[92:93]
	;; [unrolled: 1-line block ×8, first 2 shown]
	v_mov_b64_e32 v[58:59], v[48:49]
	v_add_f64 v[40:41], v[50:51], v[154:155]
	v_add_f64 v[68:69], v[68:69], v[94:95]
	v_fmac_f64_e32 v[58:59], s[12:13], v[32:33]
	v_add_f64 v[32:33], v[100:101], -v[46:47]
	v_add_f64 v[46:47], v[46:47], -v[66:67]
	v_add_f64 v[40:41], v[68:69], v[40:41]
	v_mul_f64 v[140:141], v[46:47], s[14:15]
	v_add_f64 v[46:47], v[138:139], v[40:41]
	v_mov_b64_e32 v[94:95], v[46:47]
	v_fmac_f64_e32 v[94:95], s[12:13], v[40:41]
	v_add_f64 v[40:41], v[50:51], -v[68:69]
	v_add_f64 v[68:69], v[68:69], -v[154:155]
	v_mul_f64 v[68:69], v[68:69], s[14:15]
	v_mul_f64 v[138:139], v[40:41], s[16:17]
	v_fma_f64 v[40:41], s[16:17], v[40:41], v[68:69]
	v_add_f64 v[74:75], v[74:75], -v[158:159]
	v_add_f64 v[30:31], v[30:31], -v[150:151]
	;; [unrolled: 1-line block ×3, first 2 shown]
	v_add_f64 v[156:157], v[40:41], v[94:95]
	v_add_f64 v[150:151], v[74:75], -v[30:31]
	v_add_f64 v[40:41], v[30:31], -v[38:39]
	v_add_f64 v[30:31], v[30:31], v[38:39]
	v_add_f64 v[60:61], v[172:173], -v[60:61]
	v_mul_f64 v[96:97], v[32:33], s[16:17]
	v_mul_f64 v[92:93], v[40:41], s[10:11]
	v_add_f64 v[160:161], v[74:75], v[30:31]
	v_mul_f64 v[40:41], v[60:61], s[20:21]
	v_add_f64 v[66:67], v[66:67], -v[100:101]
	v_add_f64 v[50:51], v[154:155], -v[50:51]
	;; [unrolled: 1-line block ×3, first 2 shown]
	v_fma_f64 v[176:177], s[6:7], v[98:99], v[174:175]
	v_fma_f64 v[32:33], s[16:17], v[32:33], v[140:141]
	;; [unrolled: 1-line block ×3, first 2 shown]
	v_fma_f64 v[98:99], v[98:99], s[18:19], -v[40:41]
	v_fma_f64 v[40:41], v[66:67], s[22:23], -v[96:97]
	;; [unrolled: 1-line block ×3, first 2 shown]
	v_mul_f64 v[38:39], v[74:75], s[20:21]
	v_fma_f64 v[66:67], v[66:67], s[24:25], -v[140:141]
	v_fma_f64 v[140:141], v[60:61], s[20:21], -v[174:175]
	;; [unrolled: 1-line block ×4, first 2 shown]
	v_fmac_f64_e32 v[158:159], s[2:3], v[160:161]
	v_fmac_f64_e32 v[98:99], s[2:3], v[178:179]
	v_add_f64 v[96:97], v[40:41], v[58:59]
	v_add_f64 v[66:67], v[66:67], v[58:59]
	v_fmac_f64_e32 v[140:141], s[2:3], v[178:179]
	v_add_f64 v[50:51], v[50:51], v[94:95]
	v_fmac_f64_e32 v[74:75], s[2:3], v[160:161]
	v_add_f64 v[152:153], v[32:33], v[58:59]
	v_add_f64 v[30:31], v[156:157], -v[158:159]
	v_add_f64 v[40:41], v[98:99], v[96:97]
	v_add_f64 v[100:101], v[100:101], v[94:95]
	v_fma_f64 v[138:139], v[150:151], s[18:19], -v[38:39]
	v_add_f64 v[60:61], v[66:67], -v[140:141]
	v_add_f64 v[58:59], v[74:75], v[50:51]
	v_add_f64 v[68:69], v[140:141], v[66:67]
	v_add_f64 v[66:67], v[50:51], -v[74:75]
	v_add_f64 v[94:95], v[96:97], -v[98:99]
	v_add_f64 v[96:97], v[158:159], v[156:157]
	v_fmac_f64_e32 v[138:139], s[2:3], v[160:161]
	v_add_f64 v[38:39], v[100:101], -v[138:139]
	v_add_f64 v[92:93], v[138:139], v[100:101]
	s_waitcnt vmcnt(3)
	v_mul_f64 v[74:75], v[72:73], v[144:145]
	v_fma_f64 v[74:75], v[44:45], v[142:143], -v[74:75]
	s_waitcnt vmcnt(2)
	v_mul_f64 v[156:157], v[70:71], v[124:125]
	v_fma_f64 v[156:157], v[42:43], v[122:123], -v[156:157]
	v_mul_f64 v[44:45], v[44:45], v[144:145]
	v_mul_f64 v[42:43], v[42:43], v[124:125]
	s_waitcnt vmcnt(1)
	v_mul_f64 v[138:139], v[56:57], v[148:149]
	v_fmac_f64_e32 v[44:45], v[72:73], v[142:143]
	s_waitcnt vmcnt(0)
	v_mul_f64 v[140:141], v[62:63], v[128:129]
	v_mul_f64 v[72:73], v[26:27], v[120:121]
	v_fmac_f64_e32 v[42:43], v[70:71], v[122:123]
	v_mul_f64 v[70:71], v[36:37], v[116:117]
	v_fma_f64 v[138:139], v[28:29], v[146:147], -v[138:139]
	v_fma_f64 v[140:141], v[34:35], v[126:127], -v[140:141]
	v_fmac_f64_e32 v[72:73], v[54:55], v[118:119]
	v_fmac_f64_e32 v[70:71], v[64:65], v[114:115]
	v_mul_f64 v[34:35], v[34:35], v[128:129]
	v_mul_f64 v[28:29], v[28:29], v[148:149]
	;; [unrolled: 1-line block ×4, first 2 shown]
	v_add_f64 v[54:55], v[72:73], v[44:45]
	v_add_f64 v[64:65], v[70:71], v[42:43]
	v_fmac_f64_e32 v[34:35], v[62:63], v[126:127]
	v_fmac_f64_e32 v[28:29], v[56:57], v[146:147]
	v_fma_f64 v[50:51], v[26:27], v[118:119], -v[50:51]
	v_fma_f64 v[154:155], v[36:37], v[114:115], -v[154:155]
	v_add_f64 v[26:27], v[54:55], v[64:65]
	v_add_f64 v[36:37], v[28:29], v[34:35]
	;; [unrolled: 1-line block ×4, first 2 shown]
	v_mov_b64_e32 v[52:53], v[26:27]
	v_fmac_f64_e32 v[52:53], s[12:13], v[56:57]
	v_add_f64 v[56:57], v[54:55], -v[36:37]
	v_add_f64 v[36:37], v[36:37], -v[64:65]
	v_mul_f64 v[114:115], v[36:37], s[14:15]
	v_add_f64 v[100:101], v[50:51], -v[74:75]
	v_mul_f64 v[62:63], v[56:57], s[16:17]
	v_fma_f64 v[36:37], s[16:17], v[56:57], v[114:115]
	v_add_f64 v[50:51], v[50:51], v[74:75]
	v_add_f64 v[56:57], v[154:155], v[156:157]
	;; [unrolled: 1-line block ×6, first 2 shown]
	v_mov_b64_e32 v[120:121], v[24:25]
	v_fmac_f64_e32 v[120:121], s[12:13], v[74:75]
	v_add_f64 v[74:75], v[50:51], -v[118:119]
	v_fmac_f64_e32 v[176:177], s[2:3], v[178:179]
	v_add_f64 v[150:151], v[138:139], -v[140:141]
	v_add_f64 v[158:159], v[154:155], -v[156:157]
	v_mul_f64 v[122:123], v[74:75], s[16:17]
	v_add_f64 v[50:51], v[56:57], -v[50:51]
	v_add_f64 v[32:33], v[176:177], v[152:153]
	v_add_f64 v[98:99], v[152:153], -v[176:177]
	v_add_f64 v[152:153], v[100:101], -v[150:151]
	;; [unrolled: 1-line block ×3, first 2 shown]
	v_add_f64 v[150:151], v[150:151], v[158:159]
	v_add_f64 v[118:119], v[118:119], -v[56:57]
	v_add_f64 v[72:73], v[72:73], -v[44:45]
	v_add_f64 v[28:29], v[28:29], -v[34:35]
	v_add_f64 v[42:43], v[70:71], -v[42:43]
	v_fma_f64 v[56:57], v[50:51], s[22:23], -v[122:123]
	v_add_f64 v[150:151], v[100:101], v[150:151]
	v_add_f64 v[34:35], v[28:29], -v[42:43]
	v_add_f64 v[100:101], v[158:159], -v[100:101]
	v_add_f64 v[122:123], v[56:57], v[120:121]
	v_add_f64 v[56:57], v[42:43], -v[72:73]
	v_mul_f64 v[160:161], v[160:161], s[10:11]
	v_mul_f64 v[118:119], v[118:119], s[14:15]
	v_add_f64 v[124:125], v[72:73], -v[28:29]
	v_mul_f64 v[70:71], v[34:35], s[10:11]
	v_add_f64 v[28:29], v[28:29], v[42:43]
	v_mul_f64 v[44:45], v[100:101], s[20:21]
	v_add_f64 v[54:55], v[64:65], -v[54:55]
	v_mul_f64 v[42:43], v[56:57], s[20:21]
	v_fma_f64 v[74:75], s[16:17], v[74:75], v[118:119]
	v_fma_f64 v[126:127], s[6:7], v[124:125], v[70:71]
	v_add_f64 v[28:29], v[72:73], v[28:29]
	v_fma_f64 v[128:129], v[152:153], s[18:19], -v[44:45]
	v_fma_f64 v[44:45], v[54:55], s[22:23], -v[62:63]
	v_fma_f64 v[72:73], v[124:125], s[18:19], -v[42:43]
	v_fma_f64 v[54:55], v[54:55], s[24:25], -v[114:115]
	v_fma_f64 v[64:65], v[100:101], s[20:21], -v[160:161]
	v_fma_f64 v[50:51], v[50:51], s[24:25], -v[118:119]
	v_fma_f64 v[70:71], v[56:57], s[20:21], -v[70:71]
	v_add_f64 v[74:75], v[74:75], v[120:121]
	v_fmac_f64_e32 v[126:127], s[2:3], v[28:29]
	v_fmac_f64_e32 v[72:73], s[2:3], v[28:29]
	v_add_f64 v[54:55], v[54:55], v[52:53]
	v_fmac_f64_e32 v[64:65], s[2:3], v[150:151]
	v_add_f64 v[100:101], v[50:51], v[120:121]
	v_fmac_f64_e32 v[70:71], s[2:3], v[28:29]
	v_mad_u64_u32 v[28:29], s[26:27], s8, v162, 0
	v_add_f64 v[116:117], v[36:37], v[52:53]
	v_add_f64 v[34:35], v[74:75], -v[126:127]
	v_add_f64 v[62:63], v[44:45], v[52:53]
	v_add_f64 v[52:53], v[54:55], -v[64:65]
	v_add_f64 v[50:51], v[70:71], v[100:101]
	v_add_f64 v[56:57], v[64:65], v[54:55]
	v_add_f64 v[54:55], v[100:101], -v[70:71]
	v_add_f64 v[70:71], v[126:127], v[74:75]
	v_mov_b32_e32 v74, v29
	v_mad_u64_u32 v[74:75], s[26:27], s9, v162, v[74:75]
	v_mov_b32_e32 v29, v74
	v_lshl_add_u64 v[28:29], v[28:29], 4, v[136:137]
	global_store_dwordx4 v[28:29], v[24:27], off
	v_fma_f64 v[166:167], s[6:7], v[152:153], v[160:161]
	v_fmac_f64_e32 v[166:167], s[2:3], v[150:151]
	v_add_u32_e32 v27, 0xf3, v162
	v_mad_u64_u32 v[24:25], s[26:27], s8, v27, 0
	v_mov_b32_e32 v26, v25
	v_mad_u64_u32 v[26:27], s[26:27], s9, v27, v[26:27]
	v_fmac_f64_e32 v[128:129], s[2:3], v[150:151]
	v_mov_b32_e32 v25, v26
	v_add_f64 v[44:45], v[128:129], v[62:63]
	v_add_f64 v[42:43], v[122:123], -v[72:73]
	v_add_f64 v[64:65], v[62:63], -v[128:129]
	v_add_f64 v[62:63], v[72:73], v[122:123]
	v_add_f64 v[72:73], v[116:117], -v[166:167]
	v_lshl_add_u64 v[24:25], v[24:25], 4, v[136:137]
	v_add_u32_e32 v27, 0x1e6, v162
	global_store_dwordx4 v[24:25], v[70:73], off
	v_mad_u64_u32 v[24:25], s[26:27], s8, v27, 0
	v_mov_b32_e32 v26, v25
	v_mad_u64_u32 v[26:27], s[26:27], s9, v27, v[26:27]
	v_mov_b32_e32 v25, v26
	v_lshl_add_u64 v[24:25], v[24:25], 4, v[136:137]
	v_add_u32_e32 v27, 0x2d9, v162
	global_store_dwordx4 v[24:25], v[62:65], off
	v_mad_u64_u32 v[24:25], s[26:27], s8, v27, 0
	v_mov_b32_e32 v26, v25
	v_mad_u64_u32 v[26:27], s[26:27], s9, v27, v[26:27]
	v_mov_b32_e32 v25, v26
	;; [unrolled: 7-line block ×5, first 2 shown]
	v_add_f64 v[36:37], v[166:167], v[116:117]
	v_lshl_add_u64 v[24:25], v[24:25], 4, v[136:137]
	global_store_dwordx4 v[24:25], v[34:37], off
	v_mad_u64_u32 v[24:25], s[26:27], s8, v164, 0
	v_mov_b32_e32 v26, v25
	v_mad_u64_u32 v[26:27], s[26:27], s9, v164, v[26:27]
	v_mov_b32_e32 v25, v26
	v_lshl_add_u64 v[24:25], v[24:25], 4, v[136:137]
	v_add_u32_e32 v27, 0x132, v162
	global_store_dwordx4 v[24:25], v[46:49], off
	v_mad_u64_u32 v[24:25], s[26:27], s8, v27, 0
	v_mov_b32_e32 v26, v25
	v_mad_u64_u32 v[26:27], s[26:27], s9, v27, v[26:27]
	v_mov_b32_e32 v25, v26
	v_lshl_add_u64 v[24:25], v[24:25], 4, v[136:137]
	v_add_u32_e32 v27, 0x225, v162
	;; [unrolled: 7-line block ×6, first 2 shown]
	global_store_dwordx4 v[24:25], v[38:41], off
	v_mad_u64_u32 v[24:25], s[26:27], s8, v27, 0
	v_mov_b32_e32 v26, v25
	v_mad_u64_u32 v[26:27], s[26:27], s9, v27, v[26:27]
	v_mov_b32_e32 v25, v26
	v_lshl_add_u64 v[24:25], v[24:25], 4, v[136:137]
	global_store_dwordx4 v[24:25], v[30:33], off
	v_add_u32_e32 v24, 0x7e, v162
	s_mov_b32 s26, 0x86d90545
	v_mul_hi_u32 v25, v24, s26
	v_lshrrev_b32_e32 v25, 7, v25
	v_mad_u32_u24 v28, v25, s28, v24
	v_mad_u64_u32 v[24:25], s[26:27], s8, v28, 0
	v_mov_b32_e32 v26, v25
	v_mad_u64_u32 v[26:27], s[26:27], s9, v28, v[26:27]
	v_mov_b32_e32 v25, v26
	v_lshl_add_u64 v[24:25], v[24:25], 4, v[136:137]
	v_add_u32_e32 v27, 0xf3, v28
	global_store_dwordx4 v[24:25], v[84:87], off
	v_mad_u64_u32 v[24:25], s[26:27], s8, v27, 0
	v_mov_b32_e32 v26, v25
	v_mad_u64_u32 v[26:27], s[26:27], s9, v27, v[26:27]
	v_mov_b32_e32 v25, v26
	v_lshl_add_u64 v[24:25], v[24:25], 4, v[136:137]
	v_add_u32_e32 v27, 0x1e6, v28
	global_store_dwordx4 v[24:25], v[110:113], off
	;; [unrolled: 7-line block ×6, first 2 shown]
	v_mad_u64_u32 v[24:25], s[26:27], s8, v27, 0
	v_mov_b32_e32 v26, v25
	v_mad_u64_u32 v[26:27], s[26:27], s9, v27, v[26:27]
	v_mov_b32_e32 v25, v26
	v_lshl_add_u64 v[24:25], v[24:25], 4, v[136:137]
	global_store_dwordx4 v[24:25], v[76:79], off
	s_and_b64 exec, exec, s[0:1]
	s_cbranch_execz .LBB0_20
; %bb.19:
	v_subrev_u32_e32 v24, 54, v162
	v_cndmask_b32_e64 v24, v24, v163, s[0:1]
	v_mul_i32_i24_e32 v134, 6, v24
	v_lshl_add_u64 v[48:49], v[134:135], 4, s[4:5]
	global_load_dwordx4 v[24:27], v[48:49], off offset:3840
	global_load_dwordx4 v[28:31], v[48:49], off offset:3856
	;; [unrolled: 1-line block ×6, first 2 shown]
	s_waitcnt vmcnt(5)
	v_mul_f64 v[48:49], v[8:9], v[26:27]
	v_mul_f64 v[26:27], v[0:1], v[26:27]
	s_waitcnt vmcnt(4)
	v_mul_f64 v[50:51], v[10:11], v[30:31]
	v_mul_f64 v[30:31], v[2:3], v[30:31]
	;; [unrolled: 3-line block ×4, first 2 shown]
	v_mul_f64 v[52:53], v[20:21], v[34:35]
	v_mul_f64 v[34:35], v[16:17], v[34:35]
	;; [unrolled: 1-line block ×4, first 2 shown]
	v_fma_f64 v[0:1], v[0:1], v[24:25], -v[48:49]
	v_fmac_f64_e32 v[26:27], v[8:9], v[24:25]
	v_fma_f64 v[2:3], v[2:3], v[28:29], -v[50:51]
	v_fmac_f64_e32 v[30:31], v[10:11], v[28:29]
	;; [unrolled: 2-line block ×6, first 2 shown]
	v_add_f64 v[12:13], v[0:1], v[6:7]
	v_add_f64 v[14:15], v[26:27], v[46:47]
	;; [unrolled: 1-line block ×4, first 2 shown]
	v_add_f64 v[0:1], v[0:1], -v[6:7]
	v_add_f64 v[6:7], v[26:27], -v[46:47]
	v_add_f64 v[2:3], v[2:3], -v[4:5]
	v_add_f64 v[4:5], v[30:31], -v[42:43]
	v_add_f64 v[20:21], v[8:9], v[10:11]
	v_add_f64 v[22:23], v[34:35], v[38:39]
	v_add_f64 v[8:9], v[10:11], -v[8:9]
	v_add_f64 v[10:11], v[38:39], -v[34:35]
	v_add_f64 v[24:25], v[16:17], v[12:13]
	v_add_f64 v[26:27], v[18:19], v[14:15]
	v_add_f64 v[28:29], v[16:17], -v[12:13]
	v_add_f64 v[30:31], v[18:19], -v[14:15]
	;; [unrolled: 1-line block ×6, first 2 shown]
	v_add_f64 v[32:33], v[8:9], v[2:3]
	v_add_f64 v[34:35], v[10:11], v[4:5]
	v_add_f64 v[36:37], v[8:9], -v[2:3]
	v_add_f64 v[38:39], v[10:11], -v[4:5]
	;; [unrolled: 1-line block ×3, first 2 shown]
	v_add_f64 v[20:21], v[20:21], v[24:25]
	v_add_f64 v[22:23], v[22:23], v[26:27]
	v_add_f64 v[8:9], v[0:1], -v[8:9]
	v_add_f64 v[10:11], v[6:7], -v[10:11]
	;; [unrolled: 1-line block ×3, first 2 shown]
	v_add_f64 v[24:25], v[32:33], v[0:1]
	v_add_f64 v[6:7], v[34:35], v[6:7]
	v_mul_f64 v[12:13], v[12:13], s[16:17]
	v_mul_f64 v[14:15], v[14:15], s[16:17]
	;; [unrolled: 1-line block ×7, first 2 shown]
	v_add_f64 v[0:1], v[130:131], v[20:21]
	v_add_f64 v[2:3], v[132:133], v[22:23]
	v_mul_f64 v[42:43], v[4:5], s[20:21]
	v_fma_f64 v[16:17], s[14:15], v[16:17], v[12:13]
	v_fma_f64 v[26:27], v[28:29], s[24:25], -v[26:27]
	v_fma_f64 v[32:33], v[30:31], s[24:25], -v[32:33]
	;; [unrolled: 1-line block ×4, first 2 shown]
	v_fmac_f64_e32 v[14:15], s[14:15], v[18:19]
	v_fma_f64 v[30:31], s[6:7], v[8:9], v[34:35]
	v_fma_f64 v[18:19], v[40:41], s[20:21], -v[34:35]
	v_fma_f64 v[34:35], v[4:5], s[20:21], -v[36:37]
	;; [unrolled: 1-line block ×3, first 2 shown]
	v_mov_b64_e32 v[4:5], v[0:1]
	v_mov_b64_e32 v[8:9], v[2:3]
	v_fma_f64 v[40:41], v[10:11], s[18:19], -v[42:43]
	v_fmac_f64_e32 v[4:5], s[12:13], v[20:21]
	v_fmac_f64_e32 v[8:9], s[12:13], v[22:23]
	v_fmac_f64_e32 v[36:37], s[6:7], v[10:11]
	v_add_f64 v[42:43], v[16:17], v[4:5]
	v_add_f64 v[44:45], v[14:15], v[8:9]
	;; [unrolled: 1-line block ×6, first 2 shown]
	v_fmac_f64_e32 v[30:31], s[2:3], v[24:25]
	v_fmac_f64_e32 v[18:19], s[2:3], v[24:25]
	;; [unrolled: 1-line block ×6, first 2 shown]
	v_add_f64 v[6:7], v[44:45], -v[30:31]
	v_add_f64 v[8:9], v[40:41], v[22:23]
	v_add_f64 v[10:11], v[26:27], -v[38:39]
	v_add_f64 v[14:15], v[18:19], v[20:21]
	v_add_f64 v[18:19], v[20:21], -v[18:19]
	v_add_f64 v[20:21], v[22:23], -v[40:41]
	v_add_f64 v[22:23], v[38:39], v[26:27]
	v_add_f64 v[26:27], v[30:31], v[44:45]
	v_add_u32_e32 v31, 0xbd, v162
	v_mad_u64_u32 v[28:29], s[0:1], s8, v31, 0
	v_mov_b32_e32 v30, v29
	v_mad_u64_u32 v[30:31], s[0:1], s9, v31, v[30:31]
	v_mov_b32_e32 v29, v30
	v_lshl_add_u64 v[28:29], v[28:29], 4, v[136:137]
	global_store_dwordx4 v[28:29], v[0:3], off
	v_add_f64 v[4:5], v[36:37], v[42:43]
	v_add_f64 v[12:13], v[16:17], -v[34:35]
	v_add_u32_e32 v3, 0x1b0, v162
	v_mad_u64_u32 v[0:1], s[0:1], s8, v3, 0
	v_mov_b32_e32 v2, v1
	v_mad_u64_u32 v[2:3], s[0:1], s9, v3, v[2:3]
	v_mov_b32_e32 v1, v2
	v_lshl_add_u64 v[0:1], v[0:1], 4, v[136:137]
	v_add_u32_e32 v3, 0x2a3, v162
	global_store_dwordx4 v[0:1], v[4:7], off
	v_mad_u64_u32 v[0:1], s[0:1], s8, v3, 0
	v_mov_b32_e32 v2, v1
	v_mad_u64_u32 v[2:3], s[0:1], s9, v3, v[2:3]
	v_mov_b32_e32 v1, v2
	v_lshl_add_u64 v[0:1], v[0:1], 4, v[136:137]
	v_add_u32_e32 v3, 0x396, v162
	global_store_dwordx4 v[0:1], v[8:11], off
	;; [unrolled: 7-line block ×3, first 2 shown]
	v_mad_u64_u32 v[0:1], s[0:1], s8, v3, 0
	v_mov_b32_e32 v2, v1
	v_mad_u64_u32 v[2:3], s[0:1], s9, v3, v[2:3]
	v_mov_b32_e32 v1, v2
	v_add_f64 v[16:17], v[34:35], v[16:17]
	v_lshl_add_u64 v[0:1], v[0:1], 4, v[136:137]
	v_add_u32_e32 v3, 0x57c, v162
	global_store_dwordx4 v[0:1], v[16:19], off
	v_mad_u64_u32 v[0:1], s[0:1], s8, v3, 0
	v_mov_b32_e32 v2, v1
	v_mad_u64_u32 v[2:3], s[0:1], s9, v3, v[2:3]
	v_mov_b32_e32 v1, v2
	v_lshl_add_u64 v[0:1], v[0:1], 4, v[136:137]
	v_add_u32_e32 v3, 0x66f, v162
	global_store_dwordx4 v[0:1], v[20:23], off
	v_mad_u64_u32 v[0:1], s[0:1], s8, v3, 0
	v_mov_b32_e32 v2, v1
	v_mad_u64_u32 v[2:3], s[0:1], s9, v3, v[2:3]
	v_mov_b32_e32 v1, v2
	v_add_f64 v[24:25], v[42:43], -v[36:37]
	v_lshl_add_u64 v[0:1], v[0:1], 4, v[136:137]
	global_store_dwordx4 v[0:1], v[24:27], off
.LBB0_20:
	s_endpgm
	.section	.rodata,"a",@progbits
	.p2align	6, 0x0
	.amdhsa_kernel fft_rtc_fwd_len1701_factors_3_3_3_3_3_7_wgs_63_tpt_63_halfLds_dp_ip_CI_sbrr_dirReg
		.amdhsa_group_segment_fixed_size 0
		.amdhsa_private_segment_fixed_size 0
		.amdhsa_kernarg_size 88
		.amdhsa_user_sgpr_count 2
		.amdhsa_user_sgpr_dispatch_ptr 0
		.amdhsa_user_sgpr_queue_ptr 0
		.amdhsa_user_sgpr_kernarg_segment_ptr 1
		.amdhsa_user_sgpr_dispatch_id 0
		.amdhsa_user_sgpr_kernarg_preload_length 0
		.amdhsa_user_sgpr_kernarg_preload_offset 0
		.amdhsa_user_sgpr_private_segment_size 0
		.amdhsa_uses_dynamic_stack 0
		.amdhsa_enable_private_segment 0
		.amdhsa_system_sgpr_workgroup_id_x 1
		.amdhsa_system_sgpr_workgroup_id_y 0
		.amdhsa_system_sgpr_workgroup_id_z 0
		.amdhsa_system_sgpr_workgroup_info 0
		.amdhsa_system_vgpr_workitem_id 0
		.amdhsa_next_free_vgpr 221
		.amdhsa_next_free_sgpr 29
		.amdhsa_accum_offset 224
		.amdhsa_reserve_vcc 1
		.amdhsa_float_round_mode_32 0
		.amdhsa_float_round_mode_16_64 0
		.amdhsa_float_denorm_mode_32 3
		.amdhsa_float_denorm_mode_16_64 3
		.amdhsa_dx10_clamp 1
		.amdhsa_ieee_mode 1
		.amdhsa_fp16_overflow 0
		.amdhsa_tg_split 0
		.amdhsa_exception_fp_ieee_invalid_op 0
		.amdhsa_exception_fp_denorm_src 0
		.amdhsa_exception_fp_ieee_div_zero 0
		.amdhsa_exception_fp_ieee_overflow 0
		.amdhsa_exception_fp_ieee_underflow 0
		.amdhsa_exception_fp_ieee_inexact 0
		.amdhsa_exception_int_div_zero 0
	.end_amdhsa_kernel
	.text
.Lfunc_end0:
	.size	fft_rtc_fwd_len1701_factors_3_3_3_3_3_7_wgs_63_tpt_63_halfLds_dp_ip_CI_sbrr_dirReg, .Lfunc_end0-fft_rtc_fwd_len1701_factors_3_3_3_3_3_7_wgs_63_tpt_63_halfLds_dp_ip_CI_sbrr_dirReg
                                        ; -- End function
	.section	.AMDGPU.csdata,"",@progbits
; Kernel info:
; codeLenInByte = 20112
; NumSgprs: 35
; NumVgprs: 221
; NumAgprs: 0
; TotalNumVgprs: 221
; ScratchSize: 0
; MemoryBound: 1
; FloatMode: 240
; IeeeMode: 1
; LDSByteSize: 0 bytes/workgroup (compile time only)
; SGPRBlocks: 4
; VGPRBlocks: 27
; NumSGPRsForWavesPerEU: 35
; NumVGPRsForWavesPerEU: 221
; AccumOffset: 224
; Occupancy: 2
; WaveLimiterHint : 1
; COMPUTE_PGM_RSRC2:SCRATCH_EN: 0
; COMPUTE_PGM_RSRC2:USER_SGPR: 2
; COMPUTE_PGM_RSRC2:TRAP_HANDLER: 0
; COMPUTE_PGM_RSRC2:TGID_X_EN: 1
; COMPUTE_PGM_RSRC2:TGID_Y_EN: 0
; COMPUTE_PGM_RSRC2:TGID_Z_EN: 0
; COMPUTE_PGM_RSRC2:TIDIG_COMP_CNT: 0
; COMPUTE_PGM_RSRC3_GFX90A:ACCUM_OFFSET: 55
; COMPUTE_PGM_RSRC3_GFX90A:TG_SPLIT: 0
	.text
	.p2alignl 6, 3212836864
	.fill 256, 4, 3212836864
	.type	__hip_cuid_59f5b7990de71aa9,@object ; @__hip_cuid_59f5b7990de71aa9
	.section	.bss,"aw",@nobits
	.globl	__hip_cuid_59f5b7990de71aa9
__hip_cuid_59f5b7990de71aa9:
	.byte	0                               ; 0x0
	.size	__hip_cuid_59f5b7990de71aa9, 1

	.ident	"AMD clang version 19.0.0git (https://github.com/RadeonOpenCompute/llvm-project roc-6.4.0 25133 c7fe45cf4b819c5991fe208aaa96edf142730f1d)"
	.section	".note.GNU-stack","",@progbits
	.addrsig
	.addrsig_sym __hip_cuid_59f5b7990de71aa9
	.amdgpu_metadata
---
amdhsa.kernels:
  - .agpr_count:     0
    .args:
      - .actual_access:  read_only
        .address_space:  global
        .offset:         0
        .size:           8
        .value_kind:     global_buffer
      - .offset:         8
        .size:           8
        .value_kind:     by_value
      - .actual_access:  read_only
        .address_space:  global
        .offset:         16
        .size:           8
        .value_kind:     global_buffer
      - .actual_access:  read_only
        .address_space:  global
        .offset:         24
        .size:           8
        .value_kind:     global_buffer
      - .offset:         32
        .size:           8
        .value_kind:     by_value
      - .actual_access:  read_only
        .address_space:  global
        .offset:         40
        .size:           8
        .value_kind:     global_buffer
      - .actual_access:  read_only
        .address_space:  global
        .offset:         48
        .size:           8
        .value_kind:     global_buffer
      - .offset:         56
        .size:           4
        .value_kind:     by_value
      - .actual_access:  read_only
        .address_space:  global
        .offset:         64
        .size:           8
        .value_kind:     global_buffer
      - .actual_access:  read_only
        .address_space:  global
        .offset:         72
        .size:           8
        .value_kind:     global_buffer
      - .address_space:  global
        .offset:         80
        .size:           8
        .value_kind:     global_buffer
    .group_segment_fixed_size: 0
    .kernarg_segment_align: 8
    .kernarg_segment_size: 88
    .language:       OpenCL C
    .language_version:
      - 2
      - 0
    .max_flat_workgroup_size: 63
    .name:           fft_rtc_fwd_len1701_factors_3_3_3_3_3_7_wgs_63_tpt_63_halfLds_dp_ip_CI_sbrr_dirReg
    .private_segment_fixed_size: 0
    .sgpr_count:     35
    .sgpr_spill_count: 0
    .symbol:         fft_rtc_fwd_len1701_factors_3_3_3_3_3_7_wgs_63_tpt_63_halfLds_dp_ip_CI_sbrr_dirReg.kd
    .uniform_work_group_size: 1
    .uses_dynamic_stack: false
    .vgpr_count:     221
    .vgpr_spill_count: 0
    .wavefront_size: 64
amdhsa.target:   amdgcn-amd-amdhsa--gfx950
amdhsa.version:
  - 1
  - 2
...

	.end_amdgpu_metadata
